;; amdgpu-corpus repo=ROCm/aiter kind=harvested arch=n/a opt=n/a

/root/src/amdgpu-assembly/repos/ROCm__aiter/hsa/gfx942/bf16gemm/bf16gemm_fp32bf16_tn_64x64_bshuffle_splitk.co:	file format elf64-amdgpu

Disassembly of section .text:

0000000000002900 <_ZN5aiter42bf16gemm_fp32bf16_tn_64x64_bshuffle_splitkE>:
	s_mov_b32 s49, s4                                          // 000000002900: BEB10004
	s_and_b32 s1, s1, 0xffff                                   // 000000002904: 8601FF01 0000FFFF
	s_load_dword s25, s[0:1], 0xe0                             // 00000000290C: C0020640 000000E0
	s_load_dword s26, s[0:1], 0xf0                             // 000000002914: C0020680 000000F0
	s_load_dword s27, s[0:1], 0x100                            // 00000000291C: C00206C0 00000100
	s_load_dword s28, s[0:1], 0xa0                             // 000000002924: C0020700 000000A0
	s_load_dword s29, s[0:1], 0xc0                             // 00000000292C: C0020740 000000C0
	s_load_dword s30, s[0:1], 0x80                             // 000000002934: C0020780 00000080
	s_load_dword s20, s[0:1], 0x40                             // 00000000293C: C0020500 00000040
	s_load_dword s21, s[0:1], 0x50                             // 000000002944: C0020540 00000050
	s_load_dwordx2 s[4:5], s[0:1], 0x20                        // 00000000294C: C0060100 00000020
	s_load_dwordx2 s[8:9], s[0:1], 0x30                        // 000000002954: C0060200 00000030
	s_load_dwordx2 s[12:13], s[0:1], 0x10                      // 00000000295C: C0060300 00000010
	s_load_dwordx2 s[16:17], s[0:1], 0x0                       // 000000002964: C0060400 00000000
	s_load_dword s48, s[0:1], 0x110                            // 00000000296C: C0020C00 00000110
	s_load_dword s50, s[0:1], 0x120                            // 000000002974: C0020C80 00000120
	s_load_dwordx2 s[36:37], s[0:1], 0x130                     // 00000000297C: C0060900 00000130
	s_load_dword s57, s[0:1], 0x140                            // 000000002984: C0020E40 00000140
	v_lshrrev_b32_e32 v1, 10, v0                               // 00000000298C: 2002008A
	v_lshrrev_b32_e32 v2, 10, v1                               // 000000002990: 2004028A
	v_and_b32_e32 v2, 0x3ff, v2                                // 000000002994: 260404FF 000003FF
	v_and_b32_e32 v1, 0x3ff, v1                                // 00000000299C: 260202FF 000003FF
	v_and_b32_e32 v0, 0x3ff, v0                                // 0000000029A4: 260000FF 000003FF
	v_lshrrev_b32_e32 v3, 6, v0                                // 0000000029AC: 20060086
	v_and_b32_e32 v0, 63, v0                                   // 0000000029B0: 260000BF
	s_mov_b32 s22, s2                                          // 0000000029B4: BE960002
	s_mov_b32 s23, s3                                          // 0000000029B8: BE970003
	v_readfirstlane_b32 s24, v3                                // 0000000029BC: 7E300503
	s_waitcnt lgkmcnt(0)                                       // 0000000029C0: BF8CC07F
	s_mov_b32 s18, -16                                         // 0000000029C4: BE9200D0
	s_mov_b32 s14, -16                                         // 0000000029C8: BE8E00D0
	s_mov_b32 s10, -16                                         // 0000000029CC: BE8A00D0
	s_mov_b32 s6, -16                                          // 0000000029D0: BE8600D0
	s_mov_b32 s38, -16                                         // 0000000029D4: BEA600D0
	s_mov_b32 s19, 0x20000                                     // 0000000029D8: BE9300FF 00020000
	s_mov_b32 s15, 0x20000                                     // 0000000029E0: BE8F00FF 00020000
	s_mov_b32 s11, 0x20000                                     // 0000000029E8: BE8B00FF 00020000
	s_mov_b32 s7, 0x20000                                      // 0000000029F0: BE8700FF 00020000
	s_mov_b32 s39, 0x20000                                     // 0000000029F8: BEA700FF 00020000
	s_and_b32 s17, s17, 0xffff                                 // 000000002A00: 8611FF11 0000FFFF
	s_and_b32 s13, s13, 0xffff                                 // 000000002A08: 860DFF0D 0000FFFF
	s_and_b32 s9, s9, 0xffff                                   // 000000002A10: 8609FF09 0000FFFF
	s_and_b32 s5, s5, 0xffff                                   // 000000002A18: 8605FF05 0000FFFF
	s_and_b32 s37, s37, 0xffff                                 // 000000002A20: 8625FF25 0000FFFF
	s_or_b32 s17, s17, 0x40000                                 // 000000002A28: 8711FF11 00040000
	s_or_b32 s13, s13, 0x40000                                 // 000000002A30: 870DFF0D 00040000
	s_or_b32 s9, s9, 0x40000                                   // 000000002A38: 8709FF09 00040000
	s_or_b32 s5, s5, 0x40000                                   // 000000002A40: 8705FF05 00040000
	s_or_b32 s37, s37, 0x40000                                 // 000000002A48: 8725FF25 00040000
	s_mov_b32 s35, 0x7060302                                   // 000000002A50: BEA300FF 07060302
	v_mov_b32_e32 v9, 0xffff0000                               // 000000002A58: 7E1202FF FFFF0000
	v_mov_b32_e32 v10, 0x7fff0000                              // 000000002A60: 7E1402FF 7FFF0000
	v_mov_b32_e32 v11, 0x7fff                                  // 000000002A68: 7E1602FF 00007FFF
	s_mul_i32 s31, s28, s25                                    // 000000002A70: 921F191C
	s_mov_b32 s6, s31                                          // 000000002A74: BE86001F
	s_mov_b32 s40, 0x80                                        // 000000002A78: BEA800FF 00000080
	v_lshrrev_b32_e32 v4, 5, v0                                // 000000002A80: 20080085
	v_lshlrev_b32_e32 v4, 2, v4                                // 000000002A84: 24080882
	v_mul_lo_u32 v17, v4, s28                                  // 000000002A88: D2850011 00003904
	v_and_b32_e32 v4, 31, v0                                   // 000000002A90: 2608009F
	v_lshlrev_b32_e32 v4, 2, v4                                // 000000002A94: 24080882
	v_add_u32_e32 v17, v17, v4                                 // 000000002A98: 68220911
	s_mul_i32 s31, 8, s28                                      // 000000002A9C: 921F1C88
	v_add_u32_e64 v18, v17, s31                                // 000000002AA0: D1340012 00003F11
	v_add_u32_e64 v19, v18, s31                                // 000000002AA8: D1340013 00003F12
	v_add_u32_e64 v20, v19, s31                                // 000000002AB0: D1340014 00003F13
	v_add_u32_e64 v21, v20, s31                                // 000000002AB8: D1340015 00003F14
	v_add_u32_e64 v22, v21, s31                                // 000000002AC0: D1340016 00003F15
	v_add_u32_e64 v23, v22, s31                                // 000000002AC8: D1340017 00003F16
	v_add_u32_e64 v24, v23, s31                                // 000000002AD0: D1340018 00003F17
	s_mul_i32 s31, s23, 64                                     // 000000002AD8: 921FC017
	s_add_u32 s31, s31, s24                                    // 000000002ADC: 801F181F
	s_mul_i32 s32, s31, s28                                    // 000000002AE0: 92201C1F
	v_add_u32_e64 v17, v17, s32                                // 000000002AE4: D1340011 00004111
	v_add_u32_e64 v18, v18, s32                                // 000000002AEC: D1340012 00004112
	v_add_u32_e64 v19, v19, s32                                // 000000002AF4: D1340013 00004113
	v_add_u32_e64 v20, v20, s32                                // 000000002AFC: D1340014 00004114
	v_add_u32_e64 v21, v21, s32                                // 000000002B04: D1340015 00004115
	v_add_u32_e64 v22, v22, s32                                // 000000002B0C: D1340016 00004116
	v_add_u32_e64 v23, v23, s32                                // 000000002B14: D1340017 00004117
	v_add_u32_e64 v24, v24, s32                                // 000000002B1C: D1340018 00004118
	v_lshrrev_b32_e32 v4, 4, v0                                // 000000002B24: 20080084
	v_lshlrev_b32_e32 v5, 2, v4                                // 000000002B28: 240A0882
	v_and_b32_e32 v4, 15, v0                                   // 000000002B2C: 2608008F
	v_lshrrev_b32_e32 v6, 2, v4                                // 000000002B30: 200C0882
	v_lshlrev_b32_e32 v6, 5, v6                                // 000000002B34: 240C0C85
	v_add_u32_e32 v5, v6, v5                                   // 000000002B38: 680A0B06
	v_and_b32_e32 v4, 3, v0                                    // 000000002B3C: 26080083
	v_mul_u32_u24_e32 v6, 0x208, v4                            // 000000002B40: 100C08FF 00000208
	v_add_u32_e32 v5, v6, v5                                   // 000000002B48: 680A0B06
	v_lshlrev_b32_e32 v25, 2, v5                               // 000000002B4C: 24320A82
	s_mul_i32 s31, s24, 0x820                                  // 000000002B50: 921FFF18 00000820
	s_add_u32 s42, 0, s31                                      // 000000002B58: 802A1F80
	s_add_u32 s43, 0x2080, s42                                 // 000000002B5C: 802B2AFF 00002080
	s_add_u32 s44, 0x2080, s43                                 // 000000002B64: 802C2BFF 00002080
	s_mul_i32 s31, s29, s26                                    // 000000002B6C: 921F1A1D
	s_mov_b32 s10, s31                                         // 000000002B70: BE8A001F
	s_mov_b32 s41, 0x800                                       // 000000002B74: BEA900FF 00000800
	v_lshlrev_b32_e32 v26, 4, v0                               // 000000002B7C: 24340084
	s_mov_b32 s31, 0x400                                       // 000000002B80: BE9F00FF 00000400
	v_add_u32_e64 v27, v26, s31                                // 000000002B88: D134001B 00003F1A
	s_mul_i32 s31, s22, 64                                     // 000000002B90: 921FC016
	s_mul_i32 s32, 16, s24                                     // 000000002B94: 92201890
	s_add_u32 s31, s31, s32                                    // 000000002B98: 801F201F
	s_mul_i32 s32, s31, s29                                    // 000000002B9C: 92201D1F
	v_add_u32_e64 v26, v26, s32                                // 000000002BA0: D134001A 0000411A
	v_add_u32_e64 v27, v27, s32                                // 000000002BA8: D134001B 0000411B
	s_cmp_le_u32 s48, 1                                        // 000000002BB0: BF0B8130
	s_cbranch_scc1 label_00EC                                  // 000000002BB4: BF85003E
	s_lshr_b32 s32, s27, 6                                     // 000000002BB8: 8F20861B
	v_cvt_f32_u32_e32 v4, s48                                  // 000000002BBC: 7E080C30
	s_sub_i32 s31, 0, s48                                      // 000000002BC0: 819F3080
	v_rcp_iflag_f32_e32 v4, v4                                 // 000000002BC4: 7E084704
	s_nop 0                                                    // 000000002BC8: BF800000
	v_mul_f32_e32 v4, 0x4f7ffffe, v4                           // 000000002BCC: 0A0808FF 4F7FFFFE
	v_cvt_u32_f32_e32 v4, v4                                   // 000000002BD4: 7E080F04
	v_mul_lo_u32 v5, s31, v4                                   // 000000002BD8: D2850005 0002081F
	v_mul_hi_u32 v5, v4, v5                                    // 000000002BE0: D2860005 00020B04
	v_add_u32_e32 v4, v4, v5                                   // 000000002BE8: 68080B04
	v_mul_hi_u32 v4, s32, v4                                   // 000000002BEC: D2860004 00020820
	v_mul_lo_u32 v5, v4, s48                                   // 000000002BF4: D2850005 00006104
	v_sub_u32_e32 v7, s32, v5                                  // 000000002BFC: 6A0E0A20
	v_add_u32_e32 v6, 1, v4                                    // 000000002C00: 680C0881
	v_cmp_le_u32_e32 vcc, s48, v7                              // 000000002C04: 7D960E30
	v_subrev_u32_e32 v5, s48, v7                               // 000000002C08: 6C0A0E30
	s_nop 0                                                    // 000000002C0C: BF800000
	v_cndmask_b32_e32 v4, v4, v6, vcc                          // 000000002C10: 00080D04
	v_cndmask_b32_e32 v7, v7, v5, vcc                          // 000000002C14: 000E0B07
	v_add_u32_e32 v5, 1, v4                                    // 000000002C18: 680A0881
	v_cmp_le_u32_e32 vcc, s48, v7                              // 000000002C1C: 7D960E30
	s_nop 1                                                    // 000000002C20: BF800001
	v_cndmask_b32_e32 v7, v4, v5, vcc                          // 000000002C24: 000E0B04
	s_nop 3                                                    // 000000002C28: BF800003
	v_readfirstlane_b32 s32, v7                                // 000000002C2C: 7E400507
	s_nop 3                                                    // 000000002C30: BF800003
	s_mul_i32 s32, s32, 64                                     // 000000002C34: 9220C020
	s_mul_i32 s31, s49, s32                                    // 000000002C38: 921F2031
	s_sub_i32 s52, s27, s31                                    // 000000002C3C: 81B41F1B
	s_sub_i32 s31, s48, 1                                      // 000000002C40: 819F8130
	s_cmp_eq_i32 s49, s31                                      // 000000002C44: BF001F31
	s_cselect_b32 s27, s52, s32                                // 000000002C48: 851B2034
	s_mul_i32 s31, s32, 2                                      // 000000002C4C: 921F8220
	s_mul_i32 s31, s31, s49                                    // 000000002C50: 921F311F
	v_add_u32_e64 v17, v17, s31                                // 000000002C54: D1340011 00003F11
	v_add_u32_e64 v18, v18, s31                                // 000000002C5C: D1340012 00003F12
	v_add_u32_e64 v19, v19, s31                                // 000000002C64: D1340013 00003F13
	v_add_u32_e64 v20, v20, s31                                // 000000002C6C: D1340014 00003F14
	v_add_u32_e64 v21, v21, s31                                // 000000002C74: D1340015 00003F15
	v_add_u32_e64 v22, v22, s31                                // 000000002C7C: D1340016 00003F16
	v_add_u32_e64 v23, v23, s31                                // 000000002C84: D1340017 00003F17
	v_add_u32_e64 v24, v24, s31                                // 000000002C8C: D1340018 00003F18
	s_mul_i32 s31, s32, 2                                      // 000000002C94: 921F8220
	s_mul_i32 s31, s31, s49                                    // 000000002C98: 921F311F
	s_mul_i32 s31, s31, 16                                     // 000000002C9C: 921F901F
	v_add_u32_e64 v26, v26, s31                                // 000000002CA0: D134001A 00003F1A
	v_add_u32_e64 v27, v27, s31                                // 000000002CA8: D134001B 00003F1B

0000000000002cb0 <label_00EC>:
	s_mul_i32 s31, s30, s25                                    // 000000002CB0: 921F191E
	s_mov_b32 s18, s31                                         // 000000002CB4: BE92001F
	s_cmp_lt_u32 s50, 1                                        // 000000002CB8: BF0A8132
	s_cbranch_scc0 label_010C                                  // 000000002CBC: BF84001C
	v_and_b32_e64 v12, v0, 15                                  // 000000002CC0: D113000C 00011F00
	v_mul_lo_u32 v12, v12, s30                                 // 000000002CC8: D285000C 00003D0C
	v_lshrrev_b32_e32 v4, 4, v0                                // 000000002CD0: 20080084
	v_mul_i32_i24_e32 v4, 16, v4                               // 000000002CD4: 0C080890
	v_add_u32_e32 v12, v4, v12                                 // 000000002CD8: 68181904
	s_mul_i32 s31, s23, 64                                     // 000000002CDC: 921FC017
	s_mul_i32 s31, s31, s30                                    // 000000002CE0: 921F1E1F
	v_add_u32_e32 v12, s31, v12                                // 000000002CE4: 6818181F
	s_mul_i32 s31, s22, 64                                     // 000000002CE8: 921FC016
	s_mul_i32 s31, s31, 4                                      // 000000002CEC: 921F841F
	v_add_u32_e32 v12, s31, v12                                // 000000002CF0: 6818181F
	s_mul_i32 s31, 64, s24                                     // 000000002CF4: 921F18C0
	v_add_u32_e32 v12, s31, v12                                // 000000002CF8: 6818181F
	s_mul_i32 s31, 16, s30                                     // 000000002CFC: 921F1E90
	v_add_u32_e32 v13, s31, v12                                // 000000002D00: 681A181F
	v_add_u32_e32 v14, s31, v13                                // 000000002D04: 681C1A1F
	v_add_u32_e32 v15, s31, v14                                // 000000002D08: 681E1C1F
	s_mul_i32 s31, s23, 64                                     // 000000002D0C: 921FC017
	s_add_i32 s31, s31, s24                                    // 000000002D10: 811F181F
	s_mul_i32 s31, s31, s30                                    // 000000002D14: 921F1E1F
	s_mul_i32 s32, s22, 64                                     // 000000002D18: 9220C016
	s_mul_i32 s32, s32, 4                                      // 000000002D1C: 92208420
	s_add_i32 s31, s31, s32                                    // 000000002D20: 811F201F
	v_lshlrev_b32_e32 v16, 2, v0                               // 000000002D24: 24200082
	v_add_u32_e32 v16, s31, v16                                // 000000002D28: 6820201F
	s_branch label_012D                                        // 000000002D2C: BF820021

0000000000002d30 <label_010C>:
	v_and_b32_e64 v12, v0, 15                                  // 000000002D30: D113000C 00011F00
	v_mul_lo_u32 v12, v12, s30                                 // 000000002D38: D285000C 00003D0C
	v_lshrrev_b32_e32 v4, 4, v0                                // 000000002D40: 20080084
	v_mul_i32_i24_e32 v4, 8, v4                                // 000000002D44: 0C080888
	v_add_u32_e32 v12, v4, v12                                 // 000000002D48: 68181904
	s_mul_i32 s31, s23, 64                                     // 000000002D4C: 921FC017
	s_mul_i32 s31, s31, s30                                    // 000000002D50: 921F1E1F
	v_add_u32_e32 v12, s31, v12                                // 000000002D54: 6818181F
	s_mul_i32 s31, s22, 64                                     // 000000002D58: 921FC016
	s_mul_i32 s31, s31, 2                                      // 000000002D5C: 921F821F
	v_add_u32_e32 v12, s31, v12                                // 000000002D60: 6818181F
	s_mul_i32 s31, 32, s24                                     // 000000002D64: 921F18A0
	v_add_u32_e32 v12, s31, v12                                // 000000002D68: 6818181F
	s_mul_i32 s31, 16, s30                                     // 000000002D6C: 921F1E90
	v_add_u32_e32 v13, s31, v12                                // 000000002D70: 681A181F
	v_add_u32_e32 v14, s31, v13                                // 000000002D74: 681C1A1F
	v_add_u32_e32 v15, s31, v14                                // 000000002D78: 681E1C1F
	s_mul_i32 s31, s23, 64                                     // 000000002D7C: 921FC017
	s_add_i32 s31, s31, s24                                    // 000000002D80: 811F181F
	s_mul_i32 s31, s31, s30                                    // 000000002D84: 921F1E1F
	s_mul_i32 s32, s22, 64                                     // 000000002D88: 9220C016
	s_mul_i32 s32, s32, 2                                      // 000000002D8C: 92208220
	s_add_i32 s31, s31, s32                                    // 000000002D90: 811F201F
	v_lshrrev_b32_e32 v4, 5, v0                                // 000000002D94: 20080085
	s_mul_i32 s32, s30, 4                                      // 000000002D98: 9220841E
	v_mul_lo_u32 v4, v4, s32                                   // 000000002D9C: D2850004 00004104
	v_and_b32_e32 v5, 31, v0                                   // 000000002DA4: 260A009F
	v_lshlrev_b32_e32 v5, 2, v5                                // 000000002DA8: 240A0A82
	v_add_u32_e32 v16, v4, v5                                  // 000000002DAC: 68200B04
	v_add_u32_e32 v16, s31, v16                                // 000000002DB0: 6820201F

0000000000002db4 <label_012D>:
	s_cmp_eq_u32 s57, 1                                        // 000000002DB4: BF068139
	s_cbranch_scc0 label_0160                                  // 000000002DB8: BF840031
	s_cmp_eq_i32 s49, 0                                        // 000000002DBC: BF008031
	s_cbranch_scc0 label_0160                                  // 000000002DC0: BF84002F
	s_mul_i32 s31, 2, s26                                      // 000000002DC4: 921F1A82
	s_mov_b32 s38, s31                                         // 000000002DC8: BEA6001F
	v_lshrrev_b32_e32 v4, 4, v0                                // 000000002DCC: 20080084
	v_mul_i32_i24_e32 v56, 8, v4                               // 000000002DD0: 0C700888
	s_mul_i32 s31, 32, s24                                     // 000000002DD4: 921F18A0
	v_add_u32_e32 v56, s31, v56                                // 000000002DD8: 6870701F
	s_mul_i32 s32, s22, 64                                     // 000000002DDC: 9220C016
	s_mul_i32 s32, s32, 2                                      // 000000002DE0: 92208220
	v_add_u32_e32 v56, s32, v56                                // 000000002DE4: 68707020
	v_mov_b32_e32 v58, 0                                       // 000000002DE8: 7E740280
	v_mov_b32_e32 v59, 0                                       // 000000002DEC: 7E760280
	buffer_load_dwordx2 v[58:59], v56, s[36:39], 0 offen       // 000000002DF0: E0541000 80093A38
	s_waitcnt vmcnt(0)                                         // 000000002DF8: BF8C0F70
	v_mov_b32_e32 v4, 0xffff0000                               // 000000002DFC: 7E0802FF FFFF0000
	v_and_b32_e32 v4, v58, v4                                  // 000000002E04: 2608093A
	v_mov_b32_e32 v5, 0xffff                                   // 000000002E08: 7E0A02FF 0000FFFF
	v_and_b32_e32 v5, v58, v5                                  // 000000002E10: 260A0B3A
	v_mov_b32_e32 v61, v4                                      // 000000002E14: 7E7A0304
	v_lshlrev_b32_e32 v60, 16, v5                              // 000000002E18: 24780A90
	v_mov_b32_e32 v4, 0xffff0000                               // 000000002E1C: 7E0802FF FFFF0000
	v_and_b32_e32 v4, v59, v4                                  // 000000002E24: 2608093B
	v_mov_b32_e32 v5, 0xffff                                   // 000000002E28: 7E0A02FF 0000FFFF
	v_and_b32_e32 v5, v59, v5                                  // 000000002E30: 260A0B3B
	v_mov_b32_e32 v63, v4                                      // 000000002E34: 7E7E0304
	v_lshlrev_b32_e32 v62, 16, v5                              // 000000002E38: 247C0A90
	v_mov_b32_e32 v32, v60                                     // 000000002E3C: 7E40033C
	v_mov_b32_e32 v33, v61                                     // 000000002E40: 7E42033D
	v_mov_b32_e32 v34, v62                                     // 000000002E44: 7E44033E
	v_mov_b32_e32 v35, v63                                     // 000000002E48: 7E46033F
	v_mov_b32_e32 v36, v60                                     // 000000002E4C: 7E48033C
	v_mov_b32_e32 v37, v61                                     // 000000002E50: 7E4A033D
	v_mov_b32_e32 v38, v62                                     // 000000002E54: 7E4C033E
	v_mov_b32_e32 v39, v63                                     // 000000002E58: 7E4E033F
	v_mov_b32_e32 v40, v60                                     // 000000002E5C: 7E50033C
	v_mov_b32_e32 v41, v61                                     // 000000002E60: 7E52033D
	v_mov_b32_e32 v42, v62                                     // 000000002E64: 7E54033E
	v_mov_b32_e32 v43, v63                                     // 000000002E68: 7E56033F
	v_mov_b32_e32 v44, v60                                     // 000000002E6C: 7E58033C
	v_mov_b32_e32 v45, v61                                     // 000000002E70: 7E5A033D
	v_mov_b32_e32 v46, v62                                     // 000000002E74: 7E5C033E
	v_mov_b32_e32 v47, v63                                     // 000000002E78: 7E5E033F
	s_branch label_0170                                        // 000000002E7C: BF820010

0000000000002e80 <label_0160>:
	v_mov_b32_e32 v32, 0                                       // 000000002E80: 7E400280
	v_mov_b32_e32 v33, 0                                       // 000000002E84: 7E420280
	v_mov_b32_e32 v34, 0                                       // 000000002E88: 7E440280
	v_mov_b32_e32 v35, 0                                       // 000000002E8C: 7E460280
	v_mov_b32_e32 v36, 0                                       // 000000002E90: 7E480280
	v_mov_b32_e32 v37, 0                                       // 000000002E94: 7E4A0280
	v_mov_b32_e32 v38, 0                                       // 000000002E98: 7E4C0280
	v_mov_b32_e32 v39, 0                                       // 000000002E9C: 7E4E0280
	v_mov_b32_e32 v40, 0                                       // 000000002EA0: 7E500280
	v_mov_b32_e32 v41, 0                                       // 000000002EA4: 7E520280
	v_mov_b32_e32 v42, 0                                       // 000000002EA8: 7E540280
	v_mov_b32_e32 v43, 0                                       // 000000002EAC: 7E560280
	v_mov_b32_e32 v44, 0                                       // 000000002EB0: 7E580280
	v_mov_b32_e32 v45, 0                                       // 000000002EB4: 7E5A0280
	v_mov_b32_e32 v46, 0                                       // 000000002EB8: 7E5C0280
	v_mov_b32_e32 v47, 0                                       // 000000002EBC: 7E5E0280

0000000000002ec0 <label_0170>:
	s_add_u32 m0, 0, s42                                       // 000000002EC0: 807C2A80
	buffer_load_dword v17, s[4:7], 0 offen lds                 // 000000002EC4: E0511000 80010011
	s_add_u32 m0, 0x100, s42                                   // 000000002ECC: 807C2AFF 00000100
	buffer_load_dword v18, s[4:7], 0 offen lds                 // 000000002ED4: E0511000 80010012
	s_add_u32 m0, 0x200, s42                                   // 000000002EDC: 807C2AFF 00000200
	buffer_load_dword v19, s[4:7], 0 offen lds                 // 000000002EE4: E0511000 80010013
	s_add_u32 m0, 0x300, s42                                   // 000000002EEC: 807C2AFF 00000300
	buffer_load_dword v20, s[4:7], 0 offen lds                 // 000000002EF4: E0511000 80010014
	s_add_u32 m0, 0x400, s42                                   // 000000002EFC: 807C2AFF 00000400
	buffer_load_dword v21, s[4:7], 0 offen lds                 // 000000002F04: E0511000 80010015
	s_add_u32 m0, 0x500, s42                                   // 000000002F0C: 807C2AFF 00000500
	buffer_load_dword v22, s[4:7], 0 offen lds                 // 000000002F14: E0511000 80010016
	s_add_u32 m0, 0x600, s42                                   // 000000002F1C: 807C2AFF 00000600
	buffer_load_dword v23, s[4:7], 0 offen lds                 // 000000002F24: E0511000 80010017
	s_add_u32 m0, 0x700, s42                                   // 000000002F2C: 807C2AFF 00000700
	buffer_load_dword v24, s[4:7], 0 offen lds                 // 000000002F34: E0511000 80010018
	s_add_u32 s4, s40, s4                                      // 000000002F3C: 80040428
	s_addc_u32 s5, 0, s5                                       // 000000002F40: 82050580
	s_sub_u32 s6, s6, s40                                      // 000000002F44: 80862806
	buffer_load_dwordx4 a[64:67], v26, s[8:11], 0 offen        // 000000002F48: E05C1000 8082401A
	buffer_load_dwordx4 a[68:71], v27, s[8:11], 0 offen        // 000000002F50: E05C1000 8082441B
	s_add_u32 s8, s41, s8                                      // 000000002F58: 80080829
	s_addc_u32 s9, 0, s9                                       // 000000002F5C: 82090980
	s_sub_u32 s10, s10, s41                                    // 000000002F60: 808A290A
	s_add_u32 m0, 0, s43                                       // 000000002F64: 807C2B80
	buffer_load_dword v17, s[4:7], 0 offen lds                 // 000000002F68: E0511000 80010011
	s_add_u32 m0, 0x100, s43                                   // 000000002F70: 807C2BFF 00000100
	buffer_load_dword v18, s[4:7], 0 offen lds                 // 000000002F78: E0511000 80010012
	s_add_u32 m0, 0x200, s43                                   // 000000002F80: 807C2BFF 00000200
	buffer_load_dword v19, s[4:7], 0 offen lds                 // 000000002F88: E0511000 80010013
	s_add_u32 m0, 0x300, s43                                   // 000000002F90: 807C2BFF 00000300
	buffer_load_dword v20, s[4:7], 0 offen lds                 // 000000002F98: E0511000 80010014
	s_add_u32 m0, 0x400, s43                                   // 000000002FA0: 807C2BFF 00000400
	buffer_load_dword v21, s[4:7], 0 offen lds                 // 000000002FA8: E0511000 80010015
	s_add_u32 m0, 0x500, s43                                   // 000000002FB0: 807C2BFF 00000500
	buffer_load_dword v22, s[4:7], 0 offen lds                 // 000000002FB8: E0511000 80010016
	s_add_u32 m0, 0x600, s43                                   // 000000002FC0: 807C2BFF 00000600
	buffer_load_dword v23, s[4:7], 0 offen lds                 // 000000002FC8: E0511000 80010017
	s_add_u32 m0, 0x700, s43                                   // 000000002FD0: 807C2BFF 00000700
	buffer_load_dword v24, s[4:7], 0 offen lds                 // 000000002FD8: E0511000 80010018
	s_add_u32 s4, s40, s4                                      // 000000002FE0: 80040428
	s_addc_u32 s5, 0, s5                                       // 000000002FE4: 82050580
	s_sub_u32 s6, s6, s40                                      // 000000002FE8: 80862806
	buffer_load_dwordx4 a[72:75], v26, s[8:11], 0 offen        // 000000002FEC: E05C1000 8082481A
	buffer_load_dwordx4 a[76:79], v27, s[8:11], 0 offen        // 000000002FF4: E05C1000 80824C1B
	s_add_u32 s8, s41, s8                                      // 000000002FFC: 80080829
	s_addc_u32 s9, 0, s9                                       // 000000003000: 82090980
	s_sub_u32 s10, s10, s41                                    // 000000003004: 808A290A
	s_add_u32 m0, 0, s44                                       // 000000003008: 807C2C80
	buffer_load_dword v17, s[4:7], 0 offen lds                 // 00000000300C: E0511000 80010011
	s_add_u32 m0, 0x100, s44                                   // 000000003014: 807C2CFF 00000100
	buffer_load_dword v18, s[4:7], 0 offen lds                 // 00000000301C: E0511000 80010012
	s_add_u32 m0, 0x200, s44                                   // 000000003024: 807C2CFF 00000200
	buffer_load_dword v19, s[4:7], 0 offen lds                 // 00000000302C: E0511000 80010013
	s_add_u32 m0, 0x300, s44                                   // 000000003034: 807C2CFF 00000300
	buffer_load_dword v20, s[4:7], 0 offen lds                 // 00000000303C: E0511000 80010014
	s_add_u32 m0, 0x400, s44                                   // 000000003044: 807C2CFF 00000400
	buffer_load_dword v21, s[4:7], 0 offen lds                 // 00000000304C: E0511000 80010015
	s_add_u32 m0, 0x500, s44                                   // 000000003054: 807C2CFF 00000500
	buffer_load_dword v22, s[4:7], 0 offen lds                 // 00000000305C: E0511000 80010016
	s_add_u32 m0, 0x600, s44                                   // 000000003064: 807C2CFF 00000600
	buffer_load_dword v23, s[4:7], 0 offen lds                 // 00000000306C: E0511000 80010017
	s_add_u32 m0, 0x700, s44                                   // 000000003074: 807C2CFF 00000700
	buffer_load_dword v24, s[4:7], 0 offen lds                 // 00000000307C: E0511000 80010018
	s_add_u32 s4, s40, s4                                      // 000000003084: 80040428
	s_addc_u32 s5, 0, s5                                       // 000000003088: 82050580
	s_sub_u32 s6, s6, s40                                      // 00000000308C: 80862806
	s_mov_b32 s34, s27                                         // 000000003090: BEA2001B
	s_mov_b32 s33, 0                                           // 000000003094: BEA10080
	s_mul_i32 s31, s23, 64                                     // 000000003098: 921FC017
	s_sub_i32 s51, s25, s31                                    // 00000000309C: 81B31F19
	s_waitcnt vmcnt(20)                                        // 0000000030A0: BF8C4F74
	s_barrier                                                  // 0000000030A4: BF8A0000
	ds_read_b128 a[0:3], v25                                   // 0000000030A8: DBFE0000 00000019
	ds_read_b128 a[4:7], v25 offset:64                         // 0000000030B0: DBFE0040 04000019
	ds_read_b128 a[8:11], v25 offset:512                       // 0000000030B8: DBFE0200 08000019
	ds_read_b128 a[12:15], v25 offset:576                      // 0000000030C0: DBFE0240 0C000019
	ds_read_b128 a[16:19], v25 offset:1024                     // 0000000030C8: DBFE0400 10000019
	ds_read_b128 a[20:23], v25 offset:1088                     // 0000000030D0: DBFE0440 14000019
	ds_read_b128 a[24:27], v25 offset:1536                     // 0000000030D8: DBFE0600 18000019
	ds_read_b128 a[28:31], v25 offset:1600                     // 0000000030E0: DBFE0640 1C000019
	s_cmp_lt_i32 s24, 2                                        // 0000000030E8: BF048218
	s_cbranch_scc0 label_0455                                  // 0000000030EC: BF840259

00000000000030f0 <label_01FC>:
	s_waitcnt vmcnt(10) lgkmcnt(0)                             // 0000000030F0: BF8C007A
	s_barrier                                                  // 0000000030F4: BF8A0000
	v_mfma_f32_16x16x16_bf16 v[32:35], a[64:65], a[0:1], v[32:35]// 0000000030F8: D3E10020 1C820140
	s_add_u32 m0, 0, s42                                       // 000000003100: 807C2A80
	buffer_load_dword v17, s[4:7], 0 offen lds                 // 000000003104: E0511000 80010011
	v_mfma_f32_16x16x16_bf16 v[32:35], a[66:67], a[2:3], v[32:35]// 00000000310C: D3E10020 1C820542
	s_add_u32 m0, 0x100, s42                                   // 000000003114: 807C2AFF 00000100
	buffer_load_dword v18, s[4:7], 0 offen lds                 // 00000000311C: E0511000 80010012
	ds_read_b128 a[32:35], v25 offset:8320                     // 000000003124: DBFE2080 20000019
	ds_read_b128 a[36:39], v25 offset:8384                     // 00000000312C: DBFE20C0 24000019
	v_mfma_f32_16x16x16_bf16 v[32:35], a[68:69], a[4:5], v[32:35]// 000000003134: D3E10020 1C820944
	s_add_u32 m0, 0x200, s42                                   // 00000000313C: 807C2AFF 00000200
	buffer_load_dword v19, s[4:7], 0 offen lds                 // 000000003144: E0511000 80010013
	v_mfma_f32_16x16x16_bf16 v[32:35], a[70:71], a[6:7], v[32:35]// 00000000314C: D3E10020 1C820D46
	s_add_u32 m0, 0x300, s42                                   // 000000003154: 807C2AFF 00000300
	buffer_load_dword v20, s[4:7], 0 offen lds                 // 00000000315C: E0511000 80010014
	ds_read_b128 a[40:43], v25 offset:8832                     // 000000003164: DBFE2280 28000019
	ds_read_b128 a[44:47], v25 offset:8896                     // 00000000316C: DBFE22C0 2C000019
	v_mfma_f32_16x16x16_bf16 v[36:39], a[64:65], a[8:9], v[36:39]// 000000003174: D3E10024 1C921140
	s_add_u32 m0, 0x400, s42                                   // 00000000317C: 807C2AFF 00000400
	buffer_load_dword v21, s[4:7], 0 offen lds                 // 000000003184: E0511000 80010015
	v_mfma_f32_16x16x16_bf16 v[36:39], a[66:67], a[10:11], v[36:39]// 00000000318C: D3E10024 1C921542
	s_add_u32 m0, 0x500, s42                                   // 000000003194: 807C2AFF 00000500
	buffer_load_dword v22, s[4:7], 0 offen lds                 // 00000000319C: E0511000 80010016
	ds_read_b128 a[48:51], v25 offset:9344                     // 0000000031A4: DBFE2480 30000019
	ds_read_b128 a[52:55], v25 offset:9408                     // 0000000031AC: DBFE24C0 34000019
	v_mfma_f32_16x16x16_bf16 v[36:39], a[68:69], a[12:13], v[36:39]// 0000000031B4: D3E10024 1C921944
	s_add_u32 m0, 0x600, s42                                   // 0000000031BC: 807C2AFF 00000600
	buffer_load_dword v23, s[4:7], 0 offen lds                 // 0000000031C4: E0511000 80010017
	v_mfma_f32_16x16x16_bf16 v[36:39], a[70:71], a[14:15], v[36:39]// 0000000031CC: D3E10024 1C921D46
	s_add_u32 m0, 0x700, s42                                   // 0000000031D4: 807C2AFF 00000700
	buffer_load_dword v24, s[4:7], 0 offen lds                 // 0000000031DC: E0511000 80010018
	ds_read_b128 a[56:59], v25 offset:9856                     // 0000000031E4: DBFE2680 38000019
	ds_read_b128 a[60:63], v25 offset:9920                     // 0000000031EC: DBFE26C0 3C000019
	v_mfma_f32_16x16x16_bf16 v[40:43], a[64:65], a[16:17], v[40:43]// 0000000031F4: D3E10028 1CA22140
	s_add_u32 s31, 0x100, s33                                  // 0000000031FC: 801F21FF 00000100
	s_cmp_lt_u32 s31, s34                                      // 000000003204: BF0A221F
	s_cselect_b32 s40, s40, 0                                  // 000000003208: 85288028
	buffer_load_dwordx4 a[80:83], v26, s[8:11], 0 offen        // 00000000320C: E05C1000 8082501A
	v_mfma_f32_16x16x16_bf16 v[40:43], a[66:67], a[18:19], v[40:43]// 000000003214: D3E10028 1CA22542
	buffer_load_dwordx4 a[84:87], v27, s[8:11], 0 offen        // 00000000321C: E05C1000 8082541B
	s_add_u32 s4, s40, s4                                      // 000000003224: 80040428
	s_addc_u32 s5, 0, s5                                       // 000000003228: 82050580
	v_mfma_f32_16x16x16_bf16 v[40:43], a[68:69], a[20:21], v[40:43]// 00000000322C: D3E10028 1CA22944
	s_add_u32 s31, 0xc0, s33                                   // 000000003234: 801F21FF 000000C0
	s_cmp_lt_u32 s31, s34                                      // 00000000323C: BF0A221F
	s_cselect_b32 s41, s41, 0                                  // 000000003240: 85298029
	v_mfma_f32_16x16x16_bf16 v[40:43], a[70:71], a[22:23], v[40:43]// 000000003244: D3E10028 1CA22D46
	s_add_u32 s8, s41, s8                                      // 00000000324C: 80080829
	s_addc_u32 s9, 0, s9                                       // 000000003250: 82090980
	v_mfma_f32_16x16x16_bf16 v[44:47], a[64:65], a[24:25], v[44:47]// 000000003254: D3E1002C 1CB23140
	v_mfma_f32_16x16x16_bf16 v[44:47], a[66:67], a[26:27], v[44:47]// 00000000325C: D3E1002C 1CB23542
	v_mfma_f32_16x16x16_bf16 v[44:47], a[68:69], a[28:29], v[44:47]// 000000003264: D3E1002C 1CB23944
	v_mfma_f32_16x16x16_bf16 v[44:47], a[70:71], a[30:31], v[44:47]// 00000000326C: D3E1002C 1CB23D46
	s_addk_i32 s33, 0x40                                       // 000000003274: B7210040
	s_cmp_lt_i32 s33, s34                                      // 000000003278: BF042221
	s_cbranch_scc0 label_06AE                                  // 00000000327C: BF84044E
	s_waitcnt vmcnt(10) lgkmcnt(0)                             // 000000003280: BF8C007A
	s_barrier                                                  // 000000003284: BF8A0000
	v_mfma_f32_16x16x16_bf16 v[32:35], a[72:73], a[32:33], v[32:35]// 000000003288: D3E10020 1C824148
	s_add_u32 m0, 0, s43                                       // 000000003290: 807C2B80
	buffer_load_dword v17, s[4:7], 0 offen lds                 // 000000003294: E0511000 80010011
	v_mfma_f32_16x16x16_bf16 v[32:35], a[74:75], a[34:35], v[32:35]// 00000000329C: D3E10020 1C82454A
	s_add_u32 m0, 0x100, s43                                   // 0000000032A4: 807C2BFF 00000100
	buffer_load_dword v18, s[4:7], 0 offen lds                 // 0000000032AC: E0511000 80010012
	ds_read_b128 a[0:3], v25 offset:16640                      // 0000000032B4: DBFE4100 00000019
	ds_read_b128 a[4:7], v25 offset:16704                      // 0000000032BC: DBFE4140 04000019
	v_mfma_f32_16x16x16_bf16 v[32:35], a[76:77], a[36:37], v[32:35]// 0000000032C4: D3E10020 1C82494C
	s_add_u32 m0, 0x200, s43                                   // 0000000032CC: 807C2BFF 00000200
	buffer_load_dword v19, s[4:7], 0 offen lds                 // 0000000032D4: E0511000 80010013
	v_mfma_f32_16x16x16_bf16 v[32:35], a[78:79], a[38:39], v[32:35]// 0000000032DC: D3E10020 1C824D4E
	s_add_u32 m0, 0x300, s43                                   // 0000000032E4: 807C2BFF 00000300
	buffer_load_dword v20, s[4:7], 0 offen lds                 // 0000000032EC: E0511000 80010014
	ds_read_b128 a[8:11], v25 offset:17152                     // 0000000032F4: DBFE4300 08000019
	ds_read_b128 a[12:15], v25 offset:17216                    // 0000000032FC: DBFE4340 0C000019
	v_mfma_f32_16x16x16_bf16 v[36:39], a[72:73], a[40:41], v[36:39]// 000000003304: D3E10024 1C925148
	s_add_u32 m0, 0x400, s43                                   // 00000000330C: 807C2BFF 00000400
	buffer_load_dword v21, s[4:7], 0 offen lds                 // 000000003314: E0511000 80010015
	v_mfma_f32_16x16x16_bf16 v[36:39], a[74:75], a[42:43], v[36:39]// 00000000331C: D3E10024 1C92554A
	s_add_u32 m0, 0x500, s43                                   // 000000003324: 807C2BFF 00000500
	buffer_load_dword v22, s[4:7], 0 offen lds                 // 00000000332C: E0511000 80010016
	ds_read_b128 a[16:19], v25 offset:17664                    // 000000003334: DBFE4500 10000019
	ds_read_b128 a[20:23], v25 offset:17728                    // 00000000333C: DBFE4540 14000019
	v_mfma_f32_16x16x16_bf16 v[36:39], a[76:77], a[44:45], v[36:39]// 000000003344: D3E10024 1C92594C
	s_add_u32 m0, 0x600, s43                                   // 00000000334C: 807C2BFF 00000600
	buffer_load_dword v23, s[4:7], 0 offen lds                 // 000000003354: E0511000 80010017
	v_mfma_f32_16x16x16_bf16 v[36:39], a[78:79], a[46:47], v[36:39]// 00000000335C: D3E10024 1C925D4E
	s_add_u32 m0, 0x700, s43                                   // 000000003364: 807C2BFF 00000700
	buffer_load_dword v24, s[4:7], 0 offen lds                 // 00000000336C: E0511000 80010018
	ds_read_b128 a[24:27], v25 offset:18176                    // 000000003374: DBFE4700 18000019
	ds_read_b128 a[28:31], v25 offset:18240                    // 00000000337C: DBFE4740 1C000019
	v_mfma_f32_16x16x16_bf16 v[40:43], a[72:73], a[48:49], v[40:43]// 000000003384: D3E10028 1CA26148
	s_add_u32 s31, 0x100, s33                                  // 00000000338C: 801F21FF 00000100
	s_cmp_lt_u32 s31, s34                                      // 000000003394: BF0A221F
	s_cselect_b32 s40, s40, 0                                  // 000000003398: 85288028
	buffer_load_dwordx4 a[64:67], v26, s[8:11], 0 offen        // 00000000339C: E05C1000 8082401A
	v_mfma_f32_16x16x16_bf16 v[40:43], a[74:75], a[50:51], v[40:43]// 0000000033A4: D3E10028 1CA2654A
	buffer_load_dwordx4 a[68:71], v27, s[8:11], 0 offen        // 0000000033AC: E05C1000 8082441B
	s_add_u32 s4, s40, s4                                      // 0000000033B4: 80040428
	s_addc_u32 s5, 0, s5                                       // 0000000033B8: 82050580
	v_mfma_f32_16x16x16_bf16 v[40:43], a[76:77], a[52:53], v[40:43]// 0000000033BC: D3E10028 1CA2694C
	s_add_u32 s31, 0xc0, s33                                   // 0000000033C4: 801F21FF 000000C0
	s_cmp_lt_u32 s31, s34                                      // 0000000033CC: BF0A221F
	s_cselect_b32 s41, s41, 0                                  // 0000000033D0: 85298029
	v_mfma_f32_16x16x16_bf16 v[40:43], a[78:79], a[54:55], v[40:43]// 0000000033D4: D3E10028 1CA26D4E
	s_add_u32 s8, s41, s8                                      // 0000000033DC: 80080829
	s_addc_u32 s9, 0, s9                                       // 0000000033E0: 82090980
	v_mfma_f32_16x16x16_bf16 v[44:47], a[72:73], a[56:57], v[44:47]// 0000000033E4: D3E1002C 1CB27148
	v_mfma_f32_16x16x16_bf16 v[44:47], a[74:75], a[58:59], v[44:47]// 0000000033EC: D3E1002C 1CB2754A
	v_mfma_f32_16x16x16_bf16 v[44:47], a[76:77], a[60:61], v[44:47]// 0000000033F4: D3E1002C 1CB2794C
	v_mfma_f32_16x16x16_bf16 v[44:47], a[78:79], a[62:63], v[44:47]// 0000000033FC: D3E1002C 1CB27D4E
	s_addk_i32 s33, 0x40                                       // 000000003404: B7210040
	s_cmp_lt_i32 s33, s34                                      // 000000003408: BF042221
	s_cbranch_scc0 label_06AE                                  // 00000000340C: BF8403EA
	s_waitcnt vmcnt(10) lgkmcnt(0)                             // 000000003410: BF8C007A
	s_barrier                                                  // 000000003414: BF8A0000
	v_mfma_f32_16x16x16_bf16 v[32:35], a[80:81], a[0:1], v[32:35]// 000000003418: D3E10020 1C820150
	s_add_u32 m0, 0, s44                                       // 000000003420: 807C2C80
	buffer_load_dword v17, s[4:7], 0 offen lds                 // 000000003424: E0511000 80010011
	v_mfma_f32_16x16x16_bf16 v[32:35], a[82:83], a[2:3], v[32:35]// 00000000342C: D3E10020 1C820552
	s_add_u32 m0, 0x100, s44                                   // 000000003434: 807C2CFF 00000100
	buffer_load_dword v18, s[4:7], 0 offen lds                 // 00000000343C: E0511000 80010012
	ds_read_b128 a[32:35], v25                                 // 000000003444: DBFE0000 20000019
	ds_read_b128 a[36:39], v25 offset:64                       // 00000000344C: DBFE0040 24000019
	v_mfma_f32_16x16x16_bf16 v[32:35], a[84:85], a[4:5], v[32:35]// 000000003454: D3E10020 1C820954
	s_add_u32 m0, 0x200, s44                                   // 00000000345C: 807C2CFF 00000200
	buffer_load_dword v19, s[4:7], 0 offen lds                 // 000000003464: E0511000 80010013
	v_mfma_f32_16x16x16_bf16 v[32:35], a[86:87], a[6:7], v[32:35]// 00000000346C: D3E10020 1C820D56
	s_add_u32 m0, 0x300, s44                                   // 000000003474: 807C2CFF 00000300
	buffer_load_dword v20, s[4:7], 0 offen lds                 // 00000000347C: E0511000 80010014
	ds_read_b128 a[40:43], v25 offset:512                      // 000000003484: DBFE0200 28000019
	ds_read_b128 a[44:47], v25 offset:576                      // 00000000348C: DBFE0240 2C000019
	v_mfma_f32_16x16x16_bf16 v[36:39], a[80:81], a[8:9], v[36:39]// 000000003494: D3E10024 1C921150
	s_add_u32 m0, 0x400, s44                                   // 00000000349C: 807C2CFF 00000400
	buffer_load_dword v21, s[4:7], 0 offen lds                 // 0000000034A4: E0511000 80010015
	v_mfma_f32_16x16x16_bf16 v[36:39], a[82:83], a[10:11], v[36:39]// 0000000034AC: D3E10024 1C921552
	s_add_u32 m0, 0x500, s44                                   // 0000000034B4: 807C2CFF 00000500
	buffer_load_dword v22, s[4:7], 0 offen lds                 // 0000000034BC: E0511000 80010016
	ds_read_b128 a[48:51], v25 offset:1024                     // 0000000034C4: DBFE0400 30000019
	ds_read_b128 a[52:55], v25 offset:1088                     // 0000000034CC: DBFE0440 34000019
	v_mfma_f32_16x16x16_bf16 v[36:39], a[84:85], a[12:13], v[36:39]// 0000000034D4: D3E10024 1C921954
	s_add_u32 m0, 0x600, s44                                   // 0000000034DC: 807C2CFF 00000600
	buffer_load_dword v23, s[4:7], 0 offen lds                 // 0000000034E4: E0511000 80010017
	v_mfma_f32_16x16x16_bf16 v[36:39], a[86:87], a[14:15], v[36:39]// 0000000034EC: D3E10024 1C921D56
	s_add_u32 m0, 0x700, s44                                   // 0000000034F4: 807C2CFF 00000700
	buffer_load_dword v24, s[4:7], 0 offen lds                 // 0000000034FC: E0511000 80010018
	ds_read_b128 a[56:59], v25 offset:1536                     // 000000003504: DBFE0600 38000019
	ds_read_b128 a[60:63], v25 offset:1600                     // 00000000350C: DBFE0640 3C000019
	v_mfma_f32_16x16x16_bf16 v[40:43], a[80:81], a[16:17], v[40:43]// 000000003514: D3E10028 1CA22150
	s_add_u32 s31, 0x100, s33                                  // 00000000351C: 801F21FF 00000100
	s_cmp_lt_u32 s31, s34                                      // 000000003524: BF0A221F
	s_cselect_b32 s40, s40, 0                                  // 000000003528: 85288028
	buffer_load_dwordx4 a[72:75], v26, s[8:11], 0 offen        // 00000000352C: E05C1000 8082481A
	v_mfma_f32_16x16x16_bf16 v[40:43], a[82:83], a[18:19], v[40:43]// 000000003534: D3E10028 1CA22552
	buffer_load_dwordx4 a[76:79], v27, s[8:11], 0 offen        // 00000000353C: E05C1000 80824C1B
	s_add_u32 s4, s40, s4                                      // 000000003544: 80040428
	s_addc_u32 s5, 0, s5                                       // 000000003548: 82050580
	v_mfma_f32_16x16x16_bf16 v[40:43], a[84:85], a[20:21], v[40:43]// 00000000354C: D3E10028 1CA22954
	s_add_u32 s31, 0xc0, s33                                   // 000000003554: 801F21FF 000000C0
	s_cmp_lt_u32 s31, s34                                      // 00000000355C: BF0A221F
	s_cselect_b32 s41, s41, 0                                  // 000000003560: 85298029
	v_mfma_f32_16x16x16_bf16 v[40:43], a[86:87], a[22:23], v[40:43]// 000000003564: D3E10028 1CA22D56
	s_add_u32 s8, s41, s8                                      // 00000000356C: 80080829
	s_addc_u32 s9, 0, s9                                       // 000000003570: 82090980
	v_mfma_f32_16x16x16_bf16 v[44:47], a[80:81], a[24:25], v[44:47]// 000000003574: D3E1002C 1CB23150
	v_mfma_f32_16x16x16_bf16 v[44:47], a[82:83], a[26:27], v[44:47]// 00000000357C: D3E1002C 1CB23552
	v_mfma_f32_16x16x16_bf16 v[44:47], a[84:85], a[28:29], v[44:47]// 000000003584: D3E1002C 1CB23954
	v_mfma_f32_16x16x16_bf16 v[44:47], a[86:87], a[30:31], v[44:47]// 00000000358C: D3E1002C 1CB23D56
	s_addk_i32 s33, 0x40                                       // 000000003594: B7210040
	s_cmp_lt_i32 s33, s34                                      // 000000003598: BF042221
	s_cbranch_scc0 label_06AE                                  // 00000000359C: BF840386
	s_waitcnt vmcnt(10) lgkmcnt(0)                             // 0000000035A0: BF8C007A
	s_barrier                                                  // 0000000035A4: BF8A0000
	v_mfma_f32_16x16x16_bf16 v[32:35], a[64:65], a[32:33], v[32:35]// 0000000035A8: D3E10020 1C824140
	s_add_u32 m0, 0, s42                                       // 0000000035B0: 807C2A80
	buffer_load_dword v17, s[4:7], 0 offen lds                 // 0000000035B4: E0511000 80010011
	v_mfma_f32_16x16x16_bf16 v[32:35], a[66:67], a[34:35], v[32:35]// 0000000035BC: D3E10020 1C824542
	s_add_u32 m0, 0x100, s42                                   // 0000000035C4: 807C2AFF 00000100
	buffer_load_dword v18, s[4:7], 0 offen lds                 // 0000000035CC: E0511000 80010012
	ds_read_b128 a[0:3], v25 offset:8320                       // 0000000035D4: DBFE2080 00000019
	ds_read_b128 a[4:7], v25 offset:8384                       // 0000000035DC: DBFE20C0 04000019
	v_mfma_f32_16x16x16_bf16 v[32:35], a[68:69], a[36:37], v[32:35]// 0000000035E4: D3E10020 1C824944
	s_add_u32 m0, 0x200, s42                                   // 0000000035EC: 807C2AFF 00000200
	buffer_load_dword v19, s[4:7], 0 offen lds                 // 0000000035F4: E0511000 80010013
	v_mfma_f32_16x16x16_bf16 v[32:35], a[70:71], a[38:39], v[32:35]// 0000000035FC: D3E10020 1C824D46
	s_add_u32 m0, 0x300, s42                                   // 000000003604: 807C2AFF 00000300
	buffer_load_dword v20, s[4:7], 0 offen lds                 // 00000000360C: E0511000 80010014
	ds_read_b128 a[8:11], v25 offset:8832                      // 000000003614: DBFE2280 08000019
	ds_read_b128 a[12:15], v25 offset:8896                     // 00000000361C: DBFE22C0 0C000019
	v_mfma_f32_16x16x16_bf16 v[36:39], a[64:65], a[40:41], v[36:39]// 000000003624: D3E10024 1C925140
	s_add_u32 m0, 0x400, s42                                   // 00000000362C: 807C2AFF 00000400
	buffer_load_dword v21, s[4:7], 0 offen lds                 // 000000003634: E0511000 80010015
	v_mfma_f32_16x16x16_bf16 v[36:39], a[66:67], a[42:43], v[36:39]// 00000000363C: D3E10024 1C925542
	s_add_u32 m0, 0x500, s42                                   // 000000003644: 807C2AFF 00000500
	buffer_load_dword v22, s[4:7], 0 offen lds                 // 00000000364C: E0511000 80010016
	ds_read_b128 a[16:19], v25 offset:9344                     // 000000003654: DBFE2480 10000019
	ds_read_b128 a[20:23], v25 offset:9408                     // 00000000365C: DBFE24C0 14000019
	v_mfma_f32_16x16x16_bf16 v[36:39], a[68:69], a[44:45], v[36:39]// 000000003664: D3E10024 1C925944
	s_add_u32 m0, 0x600, s42                                   // 00000000366C: 807C2AFF 00000600
	buffer_load_dword v23, s[4:7], 0 offen lds                 // 000000003674: E0511000 80010017
	v_mfma_f32_16x16x16_bf16 v[36:39], a[70:71], a[46:47], v[36:39]// 00000000367C: D3E10024 1C925D46
	s_add_u32 m0, 0x700, s42                                   // 000000003684: 807C2AFF 00000700
	buffer_load_dword v24, s[4:7], 0 offen lds                 // 00000000368C: E0511000 80010018
	ds_read_b128 a[24:27], v25 offset:9856                     // 000000003694: DBFE2680 18000019
	ds_read_b128 a[28:31], v25 offset:9920                     // 00000000369C: DBFE26C0 1C000019
	v_mfma_f32_16x16x16_bf16 v[40:43], a[64:65], a[48:49], v[40:43]// 0000000036A4: D3E10028 1CA26140
	s_add_u32 s31, 0x100, s33                                  // 0000000036AC: 801F21FF 00000100
	s_cmp_lt_u32 s31, s34                                      // 0000000036B4: BF0A221F
	s_cselect_b32 s40, s40, 0                                  // 0000000036B8: 85288028
	buffer_load_dwordx4 a[80:83], v26, s[8:11], 0 offen        // 0000000036BC: E05C1000 8082501A
	v_mfma_f32_16x16x16_bf16 v[40:43], a[66:67], a[50:51], v[40:43]// 0000000036C4: D3E10028 1CA26542
	buffer_load_dwordx4 a[84:87], v27, s[8:11], 0 offen        // 0000000036CC: E05C1000 8082541B
	s_add_u32 s4, s40, s4                                      // 0000000036D4: 80040428
	s_addc_u32 s5, 0, s5                                       // 0000000036D8: 82050580
	v_mfma_f32_16x16x16_bf16 v[40:43], a[68:69], a[52:53], v[40:43]// 0000000036DC: D3E10028 1CA26944
	s_add_u32 s31, 0xc0, s33                                   // 0000000036E4: 801F21FF 000000C0
	s_cmp_lt_u32 s31, s34                                      // 0000000036EC: BF0A221F
	s_cselect_b32 s41, s41, 0                                  // 0000000036F0: 85298029
	v_mfma_f32_16x16x16_bf16 v[40:43], a[70:71], a[54:55], v[40:43]// 0000000036F4: D3E10028 1CA26D46
	s_add_u32 s8, s41, s8                                      // 0000000036FC: 80080829
	s_addc_u32 s9, 0, s9                                       // 000000003700: 82090980
	v_mfma_f32_16x16x16_bf16 v[44:47], a[64:65], a[56:57], v[44:47]// 000000003704: D3E1002C 1CB27140
	v_mfma_f32_16x16x16_bf16 v[44:47], a[66:67], a[58:59], v[44:47]// 00000000370C: D3E1002C 1CB27542
	v_mfma_f32_16x16x16_bf16 v[44:47], a[68:69], a[60:61], v[44:47]// 000000003714: D3E1002C 1CB27944
	v_mfma_f32_16x16x16_bf16 v[44:47], a[70:71], a[62:63], v[44:47]// 00000000371C: D3E1002C 1CB27D46
	s_addk_i32 s33, 0x40                                       // 000000003724: B7210040
	s_cmp_lt_i32 s33, s34                                      // 000000003728: BF042221
	s_cbranch_scc0 label_06AE                                  // 00000000372C: BF840322
	s_waitcnt vmcnt(10) lgkmcnt(0)                             // 000000003730: BF8C007A
	s_barrier                                                  // 000000003734: BF8A0000
	v_mfma_f32_16x16x16_bf16 v[32:35], a[72:73], a[0:1], v[32:35]// 000000003738: D3E10020 1C820148
	s_add_u32 m0, 0, s43                                       // 000000003740: 807C2B80
	buffer_load_dword v17, s[4:7], 0 offen lds                 // 000000003744: E0511000 80010011
	v_mfma_f32_16x16x16_bf16 v[32:35], a[74:75], a[2:3], v[32:35]// 00000000374C: D3E10020 1C82054A
	s_add_u32 m0, 0x100, s43                                   // 000000003754: 807C2BFF 00000100
	buffer_load_dword v18, s[4:7], 0 offen lds                 // 00000000375C: E0511000 80010012
	ds_read_b128 a[32:35], v25 offset:16640                    // 000000003764: DBFE4100 20000019
	ds_read_b128 a[36:39], v25 offset:16704                    // 00000000376C: DBFE4140 24000019
	v_mfma_f32_16x16x16_bf16 v[32:35], a[76:77], a[4:5], v[32:35]// 000000003774: D3E10020 1C82094C
	s_add_u32 m0, 0x200, s43                                   // 00000000377C: 807C2BFF 00000200
	buffer_load_dword v19, s[4:7], 0 offen lds                 // 000000003784: E0511000 80010013
	v_mfma_f32_16x16x16_bf16 v[32:35], a[78:79], a[6:7], v[32:35]// 00000000378C: D3E10020 1C820D4E
	s_add_u32 m0, 0x300, s43                                   // 000000003794: 807C2BFF 00000300
	buffer_load_dword v20, s[4:7], 0 offen lds                 // 00000000379C: E0511000 80010014
	ds_read_b128 a[40:43], v25 offset:17152                    // 0000000037A4: DBFE4300 28000019
	ds_read_b128 a[44:47], v25 offset:17216                    // 0000000037AC: DBFE4340 2C000019
	v_mfma_f32_16x16x16_bf16 v[36:39], a[72:73], a[8:9], v[36:39]// 0000000037B4: D3E10024 1C921148
	s_add_u32 m0, 0x400, s43                                   // 0000000037BC: 807C2BFF 00000400
	buffer_load_dword v21, s[4:7], 0 offen lds                 // 0000000037C4: E0511000 80010015
	v_mfma_f32_16x16x16_bf16 v[36:39], a[74:75], a[10:11], v[36:39]// 0000000037CC: D3E10024 1C92154A
	s_add_u32 m0, 0x500, s43                                   // 0000000037D4: 807C2BFF 00000500
	buffer_load_dword v22, s[4:7], 0 offen lds                 // 0000000037DC: E0511000 80010016
	ds_read_b128 a[48:51], v25 offset:17664                    // 0000000037E4: DBFE4500 30000019
	ds_read_b128 a[52:55], v25 offset:17728                    // 0000000037EC: DBFE4540 34000019
	v_mfma_f32_16x16x16_bf16 v[36:39], a[76:77], a[12:13], v[36:39]// 0000000037F4: D3E10024 1C92194C
	s_add_u32 m0, 0x600, s43                                   // 0000000037FC: 807C2BFF 00000600
	buffer_load_dword v23, s[4:7], 0 offen lds                 // 000000003804: E0511000 80010017
	v_mfma_f32_16x16x16_bf16 v[36:39], a[78:79], a[14:15], v[36:39]// 00000000380C: D3E10024 1C921D4E
	s_add_u32 m0, 0x700, s43                                   // 000000003814: 807C2BFF 00000700
	buffer_load_dword v24, s[4:7], 0 offen lds                 // 00000000381C: E0511000 80010018
	ds_read_b128 a[56:59], v25 offset:18176                    // 000000003824: DBFE4700 38000019
	ds_read_b128 a[60:63], v25 offset:18240                    // 00000000382C: DBFE4740 3C000019
	v_mfma_f32_16x16x16_bf16 v[40:43], a[72:73], a[16:17], v[40:43]// 000000003834: D3E10028 1CA22148
	s_add_u32 s31, 0x100, s33                                  // 00000000383C: 801F21FF 00000100
	s_cmp_lt_u32 s31, s34                                      // 000000003844: BF0A221F
	s_cselect_b32 s40, s40, 0                                  // 000000003848: 85288028
	buffer_load_dwordx4 a[64:67], v26, s[8:11], 0 offen        // 00000000384C: E05C1000 8082401A
	v_mfma_f32_16x16x16_bf16 v[40:43], a[74:75], a[18:19], v[40:43]// 000000003854: D3E10028 1CA2254A
	buffer_load_dwordx4 a[68:71], v27, s[8:11], 0 offen        // 00000000385C: E05C1000 8082441B
	s_add_u32 s4, s40, s4                                      // 000000003864: 80040428
	s_addc_u32 s5, 0, s5                                       // 000000003868: 82050580
	v_mfma_f32_16x16x16_bf16 v[40:43], a[76:77], a[20:21], v[40:43]// 00000000386C: D3E10028 1CA2294C
	s_add_u32 s31, 0xc0, s33                                   // 000000003874: 801F21FF 000000C0
	s_cmp_lt_u32 s31, s34                                      // 00000000387C: BF0A221F
	s_cselect_b32 s41, s41, 0                                  // 000000003880: 85298029
	v_mfma_f32_16x16x16_bf16 v[40:43], a[78:79], a[22:23], v[40:43]// 000000003884: D3E10028 1CA22D4E
	s_add_u32 s8, s41, s8                                      // 00000000388C: 80080829
	s_addc_u32 s9, 0, s9                                       // 000000003890: 82090980
	v_mfma_f32_16x16x16_bf16 v[44:47], a[72:73], a[24:25], v[44:47]// 000000003894: D3E1002C 1CB23148
	v_mfma_f32_16x16x16_bf16 v[44:47], a[74:75], a[26:27], v[44:47]// 00000000389C: D3E1002C 1CB2354A
	v_mfma_f32_16x16x16_bf16 v[44:47], a[76:77], a[28:29], v[44:47]// 0000000038A4: D3E1002C 1CB2394C
	v_mfma_f32_16x16x16_bf16 v[44:47], a[78:79], a[30:31], v[44:47]// 0000000038AC: D3E1002C 1CB23D4E
	s_addk_i32 s33, 0x40                                       // 0000000038B4: B7210040
	s_cmp_lt_i32 s33, s34                                      // 0000000038B8: BF042221
	s_cbranch_scc0 label_06AE                                  // 0000000038BC: BF8402BE
	s_waitcnt vmcnt(10) lgkmcnt(0)                             // 0000000038C0: BF8C007A
	s_barrier                                                  // 0000000038C4: BF8A0000
	v_mfma_f32_16x16x16_bf16 v[32:35], a[80:81], a[32:33], v[32:35]// 0000000038C8: D3E10020 1C824150
	s_add_u32 m0, 0, s44                                       // 0000000038D0: 807C2C80
	buffer_load_dword v17, s[4:7], 0 offen lds                 // 0000000038D4: E0511000 80010011
	v_mfma_f32_16x16x16_bf16 v[32:35], a[82:83], a[34:35], v[32:35]// 0000000038DC: D3E10020 1C824552
	s_add_u32 m0, 0x100, s44                                   // 0000000038E4: 807C2CFF 00000100
	buffer_load_dword v18, s[4:7], 0 offen lds                 // 0000000038EC: E0511000 80010012
	ds_read_b128 a[0:3], v25                                   // 0000000038F4: DBFE0000 00000019
	ds_read_b128 a[4:7], v25 offset:64                         // 0000000038FC: DBFE0040 04000019
	v_mfma_f32_16x16x16_bf16 v[32:35], a[84:85], a[36:37], v[32:35]// 000000003904: D3E10020 1C824954
	s_add_u32 m0, 0x200, s44                                   // 00000000390C: 807C2CFF 00000200
	buffer_load_dword v19, s[4:7], 0 offen lds                 // 000000003914: E0511000 80010013
	v_mfma_f32_16x16x16_bf16 v[32:35], a[86:87], a[38:39], v[32:35]// 00000000391C: D3E10020 1C824D56
	s_add_u32 m0, 0x300, s44                                   // 000000003924: 807C2CFF 00000300
	buffer_load_dword v20, s[4:7], 0 offen lds                 // 00000000392C: E0511000 80010014
	ds_read_b128 a[8:11], v25 offset:512                       // 000000003934: DBFE0200 08000019
	ds_read_b128 a[12:15], v25 offset:576                      // 00000000393C: DBFE0240 0C000019
	v_mfma_f32_16x16x16_bf16 v[36:39], a[80:81], a[40:41], v[36:39]// 000000003944: D3E10024 1C925150
	s_add_u32 m0, 0x400, s44                                   // 00000000394C: 807C2CFF 00000400
	buffer_load_dword v21, s[4:7], 0 offen lds                 // 000000003954: E0511000 80010015
	v_mfma_f32_16x16x16_bf16 v[36:39], a[82:83], a[42:43], v[36:39]// 00000000395C: D3E10024 1C925552
	s_add_u32 m0, 0x500, s44                                   // 000000003964: 807C2CFF 00000500
	buffer_load_dword v22, s[4:7], 0 offen lds                 // 00000000396C: E0511000 80010016
	ds_read_b128 a[16:19], v25 offset:1024                     // 000000003974: DBFE0400 10000019
	ds_read_b128 a[20:23], v25 offset:1088                     // 00000000397C: DBFE0440 14000019
	v_mfma_f32_16x16x16_bf16 v[36:39], a[84:85], a[44:45], v[36:39]// 000000003984: D3E10024 1C925954
	s_add_u32 m0, 0x600, s44                                   // 00000000398C: 807C2CFF 00000600
	buffer_load_dword v23, s[4:7], 0 offen lds                 // 000000003994: E0511000 80010017
	v_mfma_f32_16x16x16_bf16 v[36:39], a[86:87], a[46:47], v[36:39]// 00000000399C: D3E10024 1C925D56
	s_add_u32 m0, 0x700, s44                                   // 0000000039A4: 807C2CFF 00000700
	buffer_load_dword v24, s[4:7], 0 offen lds                 // 0000000039AC: E0511000 80010018
	ds_read_b128 a[24:27], v25 offset:1536                     // 0000000039B4: DBFE0600 18000019
	ds_read_b128 a[28:31], v25 offset:1600                     // 0000000039BC: DBFE0640 1C000019
	v_mfma_f32_16x16x16_bf16 v[40:43], a[80:81], a[48:49], v[40:43]// 0000000039C4: D3E10028 1CA26150
	s_add_u32 s31, 0x100, s33                                  // 0000000039CC: 801F21FF 00000100
	s_cmp_lt_u32 s31, s34                                      // 0000000039D4: BF0A221F
	s_cselect_b32 s40, s40, 0                                  // 0000000039D8: 85288028
	buffer_load_dwordx4 a[72:75], v26, s[8:11], 0 offen        // 0000000039DC: E05C1000 8082481A
	v_mfma_f32_16x16x16_bf16 v[40:43], a[82:83], a[50:51], v[40:43]// 0000000039E4: D3E10028 1CA26552
	buffer_load_dwordx4 a[76:79], v27, s[8:11], 0 offen        // 0000000039EC: E05C1000 80824C1B
	s_add_u32 s4, s40, s4                                      // 0000000039F4: 80040428
	s_addc_u32 s5, 0, s5                                       // 0000000039F8: 82050580
	v_mfma_f32_16x16x16_bf16 v[40:43], a[84:85], a[52:53], v[40:43]// 0000000039FC: D3E10028 1CA26954
	s_add_u32 s31, 0xc0, s33                                   // 000000003A04: 801F21FF 000000C0
	s_cmp_lt_u32 s31, s34                                      // 000000003A0C: BF0A221F
	s_cselect_b32 s41, s41, 0                                  // 000000003A10: 85298029
	v_mfma_f32_16x16x16_bf16 v[40:43], a[86:87], a[54:55], v[40:43]// 000000003A14: D3E10028 1CA26D56
	s_add_u32 s8, s41, s8                                      // 000000003A1C: 80080829
	s_addc_u32 s9, 0, s9                                       // 000000003A20: 82090980
	v_mfma_f32_16x16x16_bf16 v[44:47], a[80:81], a[56:57], v[44:47]// 000000003A24: D3E1002C 1CB27150
	v_mfma_f32_16x16x16_bf16 v[44:47], a[82:83], a[58:59], v[44:47]// 000000003A2C: D3E1002C 1CB27552
	v_mfma_f32_16x16x16_bf16 v[44:47], a[84:85], a[60:61], v[44:47]// 000000003A34: D3E1002C 1CB27954
	v_mfma_f32_16x16x16_bf16 v[44:47], a[86:87], a[62:63], v[44:47]// 000000003A3C: D3E1002C 1CB27D56
	s_addk_i32 s33, 0x40                                       // 000000003A44: B7210040
	s_cmp_lt_i32 s33, s34                                      // 000000003A48: BF042221
	s_cbranch_scc0 label_06AE                                  // 000000003A4C: BF84025A
	s_branch label_01FC                                        // 000000003A50: BF82FDA7

0000000000003a54 <label_0455>:
	s_waitcnt vmcnt(10) lgkmcnt(0)                             // 000000003A54: BF8C007A
	s_barrier                                                  // 000000003A58: BF8A0000
	v_mfma_f32_16x16x16_bf16 v[32:35], a[64:65], a[0:1], v[32:35]// 000000003A5C: D3E10020 1C820140
	s_add_u32 m0, 0, s42                                       // 000000003A64: 807C2A80
	buffer_load_dword v17, s[4:7], 0 offen lds                 // 000000003A68: E0511000 80010011
	ds_read_b128 a[32:35], v25 offset:8320                     // 000000003A70: DBFE2080 20000019
	ds_read_b128 a[36:39], v25 offset:8384                     // 000000003A78: DBFE20C0 24000019
	v_mfma_f32_16x16x16_bf16 v[32:35], a[66:67], a[2:3], v[32:35]// 000000003A80: D3E10020 1C820542
	s_add_u32 m0, 0x100, s42                                   // 000000003A88: 807C2AFF 00000100
	buffer_load_dword v18, s[4:7], 0 offen lds                 // 000000003A90: E0511000 80010012
	v_mfma_f32_16x16x16_bf16 v[32:35], a[68:69], a[4:5], v[32:35]// 000000003A98: D3E10020 1C820944
	s_add_u32 m0, 0x200, s42                                   // 000000003AA0: 807C2AFF 00000200
	buffer_load_dword v19, s[4:7], 0 offen lds                 // 000000003AA8: E0511000 80010013
	ds_read_b128 a[40:43], v25 offset:8832                     // 000000003AB0: DBFE2280 28000019
	ds_read_b128 a[44:47], v25 offset:8896                     // 000000003AB8: DBFE22C0 2C000019
	v_mfma_f32_16x16x16_bf16 v[32:35], a[70:71], a[6:7], v[32:35]// 000000003AC0: D3E10020 1C820D46
	s_add_u32 m0, 0x300, s42                                   // 000000003AC8: 807C2AFF 00000300
	buffer_load_dword v20, s[4:7], 0 offen lds                 // 000000003AD0: E0511000 80010014
	v_mfma_f32_16x16x16_bf16 v[36:39], a[64:65], a[8:9], v[36:39]// 000000003AD8: D3E10024 1C921140
	s_add_u32 m0, 0x400, s42                                   // 000000003AE0: 807C2AFF 00000400
	buffer_load_dword v21, s[4:7], 0 offen lds                 // 000000003AE8: E0511000 80010015
	ds_read_b128 a[48:51], v25 offset:9344                     // 000000003AF0: DBFE2480 30000019
	ds_read_b128 a[52:55], v25 offset:9408                     // 000000003AF8: DBFE24C0 34000019
	v_mfma_f32_16x16x16_bf16 v[36:39], a[66:67], a[10:11], v[36:39]// 000000003B00: D3E10024 1C921542
	s_add_u32 m0, 0x500, s42                                   // 000000003B08: 807C2AFF 00000500
	buffer_load_dword v22, s[4:7], 0 offen lds                 // 000000003B10: E0511000 80010016
	v_mfma_f32_16x16x16_bf16 v[36:39], a[68:69], a[12:13], v[36:39]// 000000003B18: D3E10024 1C921944
	s_add_u32 m0, 0x600, s42                                   // 000000003B20: 807C2AFF 00000600
	buffer_load_dword v23, s[4:7], 0 offen lds                 // 000000003B28: E0511000 80010017
	ds_read_b128 a[56:59], v25 offset:9856                     // 000000003B30: DBFE2680 38000019
	ds_read_b128 a[60:63], v25 offset:9920                     // 000000003B38: DBFE26C0 3C000019
	v_mfma_f32_16x16x16_bf16 v[36:39], a[70:71], a[14:15], v[36:39]// 000000003B40: D3E10024 1C921D46
	s_add_u32 m0, 0x700, s42                                   // 000000003B48: 807C2AFF 00000700
	buffer_load_dword v24, s[4:7], 0 offen lds                 // 000000003B50: E0511000 80010018
	v_mfma_f32_16x16x16_bf16 v[40:43], a[64:65], a[16:17], v[40:43]// 000000003B58: D3E10028 1CA22140
	s_add_u32 s31, 0x100, s33                                  // 000000003B60: 801F21FF 00000100
	s_cmp_lt_u32 s31, s34                                      // 000000003B68: BF0A221F
	s_cselect_b32 s40, s40, 0                                  // 000000003B6C: 85288028
	buffer_load_dwordx4 a[80:83], v26, s[8:11], 0 offen        // 000000003B70: E05C1000 8082501A
	s_add_u32 s4, s40, s4                                      // 000000003B78: 80040428
	s_addc_u32 s5, 0, s5                                       // 000000003B7C: 82050580
	v_mfma_f32_16x16x16_bf16 v[40:43], a[66:67], a[18:19], v[40:43]// 000000003B80: D3E10028 1CA22542
	buffer_load_dwordx4 a[84:87], v27, s[8:11], 0 offen        // 000000003B88: E05C1000 8082541B
	v_mfma_f32_16x16x16_bf16 v[40:43], a[68:69], a[20:21], v[40:43]// 000000003B90: D3E10028 1CA22944
	s_add_u32 s31, 0xc0, s33                                   // 000000003B98: 801F21FF 000000C0
	s_cmp_lt_u32 s31, s34                                      // 000000003BA0: BF0A221F
	s_cselect_b32 s41, s41, 0                                  // 000000003BA4: 85298029
	s_add_u32 s8, s41, s8                                      // 000000003BA8: 80080829
	s_addc_u32 s9, 0, s9                                       // 000000003BAC: 82090980
	v_mfma_f32_16x16x16_bf16 v[40:43], a[70:71], a[22:23], v[40:43]// 000000003BB0: D3E10028 1CA22D46
	v_mfma_f32_16x16x16_bf16 v[44:47], a[64:65], a[24:25], v[44:47]// 000000003BB8: D3E1002C 1CB23140
	v_mfma_f32_16x16x16_bf16 v[44:47], a[66:67], a[26:27], v[44:47]// 000000003BC0: D3E1002C 1CB23542
	v_mfma_f32_16x16x16_bf16 v[44:47], a[68:69], a[28:29], v[44:47]// 000000003BC8: D3E1002C 1CB23944
	v_mfma_f32_16x16x16_bf16 v[44:47], a[70:71], a[30:31], v[44:47]// 000000003BD0: D3E1002C 1CB23D46
	s_addk_i32 s33, 0x40                                       // 000000003BD8: B7210040
	s_cmp_lt_i32 s33, s34                                      // 000000003BDC: BF042221
	s_cbranch_scc0 label_06AE                                  // 000000003BE0: BF8401F5
	s_waitcnt vmcnt(10) lgkmcnt(0)                             // 000000003BE4: BF8C007A
	s_barrier                                                  // 000000003BE8: BF8A0000
	v_mfma_f32_16x16x16_bf16 v[32:35], a[72:73], a[32:33], v[32:35]// 000000003BEC: D3E10020 1C824148
	s_add_u32 m0, 0, s43                                       // 000000003BF4: 807C2B80
	buffer_load_dword v17, s[4:7], 0 offen lds                 // 000000003BF8: E0511000 80010011
	ds_read_b128 a[0:3], v25 offset:16640                      // 000000003C00: DBFE4100 00000019
	ds_read_b128 a[4:7], v25 offset:16704                      // 000000003C08: DBFE4140 04000019
	v_mfma_f32_16x16x16_bf16 v[32:35], a[74:75], a[34:35], v[32:35]// 000000003C10: D3E10020 1C82454A
	s_add_u32 m0, 0x100, s43                                   // 000000003C18: 807C2BFF 00000100
	buffer_load_dword v18, s[4:7], 0 offen lds                 // 000000003C20: E0511000 80010012
	v_mfma_f32_16x16x16_bf16 v[32:35], a[76:77], a[36:37], v[32:35]// 000000003C28: D3E10020 1C82494C
	s_add_u32 m0, 0x200, s43                                   // 000000003C30: 807C2BFF 00000200
	buffer_load_dword v19, s[4:7], 0 offen lds                 // 000000003C38: E0511000 80010013
	ds_read_b128 a[8:11], v25 offset:17152                     // 000000003C40: DBFE4300 08000019
	ds_read_b128 a[12:15], v25 offset:17216                    // 000000003C48: DBFE4340 0C000019
	v_mfma_f32_16x16x16_bf16 v[32:35], a[78:79], a[38:39], v[32:35]// 000000003C50: D3E10020 1C824D4E
	s_add_u32 m0, 0x300, s43                                   // 000000003C58: 807C2BFF 00000300
	buffer_load_dword v20, s[4:7], 0 offen lds                 // 000000003C60: E0511000 80010014
	v_mfma_f32_16x16x16_bf16 v[36:39], a[72:73], a[40:41], v[36:39]// 000000003C68: D3E10024 1C925148
	s_add_u32 m0, 0x400, s43                                   // 000000003C70: 807C2BFF 00000400
	buffer_load_dword v21, s[4:7], 0 offen lds                 // 000000003C78: E0511000 80010015
	ds_read_b128 a[16:19], v25 offset:17664                    // 000000003C80: DBFE4500 10000019
	ds_read_b128 a[20:23], v25 offset:17728                    // 000000003C88: DBFE4540 14000019
	v_mfma_f32_16x16x16_bf16 v[36:39], a[74:75], a[42:43], v[36:39]// 000000003C90: D3E10024 1C92554A
	s_add_u32 m0, 0x500, s43                                   // 000000003C98: 807C2BFF 00000500
	buffer_load_dword v22, s[4:7], 0 offen lds                 // 000000003CA0: E0511000 80010016
	v_mfma_f32_16x16x16_bf16 v[36:39], a[76:77], a[44:45], v[36:39]// 000000003CA8: D3E10024 1C92594C
	s_add_u32 m0, 0x600, s43                                   // 000000003CB0: 807C2BFF 00000600
	buffer_load_dword v23, s[4:7], 0 offen lds                 // 000000003CB8: E0511000 80010017
	ds_read_b128 a[24:27], v25 offset:18176                    // 000000003CC0: DBFE4700 18000019
	ds_read_b128 a[28:31], v25 offset:18240                    // 000000003CC8: DBFE4740 1C000019
	v_mfma_f32_16x16x16_bf16 v[36:39], a[78:79], a[46:47], v[36:39]// 000000003CD0: D3E10024 1C925D4E
	s_add_u32 m0, 0x700, s43                                   // 000000003CD8: 807C2BFF 00000700
	buffer_load_dword v24, s[4:7], 0 offen lds                 // 000000003CE0: E0511000 80010018
	v_mfma_f32_16x16x16_bf16 v[40:43], a[72:73], a[48:49], v[40:43]// 000000003CE8: D3E10028 1CA26148
	s_add_u32 s31, 0x100, s33                                  // 000000003CF0: 801F21FF 00000100
	s_cmp_lt_u32 s31, s34                                      // 000000003CF8: BF0A221F
	s_cselect_b32 s40, s40, 0                                  // 000000003CFC: 85288028
	buffer_load_dwordx4 a[64:67], v26, s[8:11], 0 offen        // 000000003D00: E05C1000 8082401A
	s_add_u32 s4, s40, s4                                      // 000000003D08: 80040428
	s_addc_u32 s5, 0, s5                                       // 000000003D0C: 82050580
	v_mfma_f32_16x16x16_bf16 v[40:43], a[74:75], a[50:51], v[40:43]// 000000003D10: D3E10028 1CA2654A
	buffer_load_dwordx4 a[68:71], v27, s[8:11], 0 offen        // 000000003D18: E05C1000 8082441B
	v_mfma_f32_16x16x16_bf16 v[40:43], a[76:77], a[52:53], v[40:43]// 000000003D20: D3E10028 1CA2694C
	s_add_u32 s31, 0xc0, s33                                   // 000000003D28: 801F21FF 000000C0
	s_cmp_lt_u32 s31, s34                                      // 000000003D30: BF0A221F
	s_cselect_b32 s41, s41, 0                                  // 000000003D34: 85298029
	s_add_u32 s8, s41, s8                                      // 000000003D38: 80080829
	s_addc_u32 s9, 0, s9                                       // 000000003D3C: 82090980
	v_mfma_f32_16x16x16_bf16 v[40:43], a[78:79], a[54:55], v[40:43]// 000000003D40: D3E10028 1CA26D4E
	v_mfma_f32_16x16x16_bf16 v[44:47], a[72:73], a[56:57], v[44:47]// 000000003D48: D3E1002C 1CB27148
	v_mfma_f32_16x16x16_bf16 v[44:47], a[74:75], a[58:59], v[44:47]// 000000003D50: D3E1002C 1CB2754A
	v_mfma_f32_16x16x16_bf16 v[44:47], a[76:77], a[60:61], v[44:47]// 000000003D58: D3E1002C 1CB2794C
	v_mfma_f32_16x16x16_bf16 v[44:47], a[78:79], a[62:63], v[44:47]// 000000003D60: D3E1002C 1CB27D4E
	s_addk_i32 s33, 0x40                                       // 000000003D68: B7210040
	s_cmp_lt_i32 s33, s34                                      // 000000003D6C: BF042221
	s_cbranch_scc0 label_06AE                                  // 000000003D70: BF840191
	s_waitcnt vmcnt(10) lgkmcnt(0)                             // 000000003D74: BF8C007A
	s_barrier                                                  // 000000003D78: BF8A0000
	v_mfma_f32_16x16x16_bf16 v[32:35], a[80:81], a[0:1], v[32:35]// 000000003D7C: D3E10020 1C820150
	s_add_u32 m0, 0, s44                                       // 000000003D84: 807C2C80
	buffer_load_dword v17, s[4:7], 0 offen lds                 // 000000003D88: E0511000 80010011
	ds_read_b128 a[32:35], v25                                 // 000000003D90: DBFE0000 20000019
	ds_read_b128 a[36:39], v25 offset:64                       // 000000003D98: DBFE0040 24000019
	v_mfma_f32_16x16x16_bf16 v[32:35], a[82:83], a[2:3], v[32:35]// 000000003DA0: D3E10020 1C820552
	s_add_u32 m0, 0x100, s44                                   // 000000003DA8: 807C2CFF 00000100
	buffer_load_dword v18, s[4:7], 0 offen lds                 // 000000003DB0: E0511000 80010012
	v_mfma_f32_16x16x16_bf16 v[32:35], a[84:85], a[4:5], v[32:35]// 000000003DB8: D3E10020 1C820954
	s_add_u32 m0, 0x200, s44                                   // 000000003DC0: 807C2CFF 00000200
	buffer_load_dword v19, s[4:7], 0 offen lds                 // 000000003DC8: E0511000 80010013
	ds_read_b128 a[40:43], v25 offset:512                      // 000000003DD0: DBFE0200 28000019
	ds_read_b128 a[44:47], v25 offset:576                      // 000000003DD8: DBFE0240 2C000019
	v_mfma_f32_16x16x16_bf16 v[32:35], a[86:87], a[6:7], v[32:35]// 000000003DE0: D3E10020 1C820D56
	s_add_u32 m0, 0x300, s44                                   // 000000003DE8: 807C2CFF 00000300
	buffer_load_dword v20, s[4:7], 0 offen lds                 // 000000003DF0: E0511000 80010014
	v_mfma_f32_16x16x16_bf16 v[36:39], a[80:81], a[8:9], v[36:39]// 000000003DF8: D3E10024 1C921150
	s_add_u32 m0, 0x400, s44                                   // 000000003E00: 807C2CFF 00000400
	buffer_load_dword v21, s[4:7], 0 offen lds                 // 000000003E08: E0511000 80010015
	ds_read_b128 a[48:51], v25 offset:1024                     // 000000003E10: DBFE0400 30000019
	ds_read_b128 a[52:55], v25 offset:1088                     // 000000003E18: DBFE0440 34000019
	v_mfma_f32_16x16x16_bf16 v[36:39], a[82:83], a[10:11], v[36:39]// 000000003E20: D3E10024 1C921552
	s_add_u32 m0, 0x500, s44                                   // 000000003E28: 807C2CFF 00000500
	buffer_load_dword v22, s[4:7], 0 offen lds                 // 000000003E30: E0511000 80010016
	v_mfma_f32_16x16x16_bf16 v[36:39], a[84:85], a[12:13], v[36:39]// 000000003E38: D3E10024 1C921954
	s_add_u32 m0, 0x600, s44                                   // 000000003E40: 807C2CFF 00000600
	buffer_load_dword v23, s[4:7], 0 offen lds                 // 000000003E48: E0511000 80010017
	ds_read_b128 a[56:59], v25 offset:1536                     // 000000003E50: DBFE0600 38000019
	ds_read_b128 a[60:63], v25 offset:1600                     // 000000003E58: DBFE0640 3C000019
	v_mfma_f32_16x16x16_bf16 v[36:39], a[86:87], a[14:15], v[36:39]// 000000003E60: D3E10024 1C921D56
	s_add_u32 m0, 0x700, s44                                   // 000000003E68: 807C2CFF 00000700
	buffer_load_dword v24, s[4:7], 0 offen lds                 // 000000003E70: E0511000 80010018
	v_mfma_f32_16x16x16_bf16 v[40:43], a[80:81], a[16:17], v[40:43]// 000000003E78: D3E10028 1CA22150
	s_add_u32 s31, 0x100, s33                                  // 000000003E80: 801F21FF 00000100
	s_cmp_lt_u32 s31, s34                                      // 000000003E88: BF0A221F
	s_cselect_b32 s40, s40, 0                                  // 000000003E8C: 85288028
	buffer_load_dwordx4 a[72:75], v26, s[8:11], 0 offen        // 000000003E90: E05C1000 8082481A
	s_add_u32 s4, s40, s4                                      // 000000003E98: 80040428
	s_addc_u32 s5, 0, s5                                       // 000000003E9C: 82050580
	v_mfma_f32_16x16x16_bf16 v[40:43], a[82:83], a[18:19], v[40:43]// 000000003EA0: D3E10028 1CA22552
	buffer_load_dwordx4 a[76:79], v27, s[8:11], 0 offen        // 000000003EA8: E05C1000 80824C1B
	v_mfma_f32_16x16x16_bf16 v[40:43], a[84:85], a[20:21], v[40:43]// 000000003EB0: D3E10028 1CA22954
	s_add_u32 s31, 0xc0, s33                                   // 000000003EB8: 801F21FF 000000C0
	s_cmp_lt_u32 s31, s34                                      // 000000003EC0: BF0A221F
	s_cselect_b32 s41, s41, 0                                  // 000000003EC4: 85298029
	s_add_u32 s8, s41, s8                                      // 000000003EC8: 80080829
	s_addc_u32 s9, 0, s9                                       // 000000003ECC: 82090980
	v_mfma_f32_16x16x16_bf16 v[40:43], a[86:87], a[22:23], v[40:43]// 000000003ED0: D3E10028 1CA22D56
	v_mfma_f32_16x16x16_bf16 v[44:47], a[80:81], a[24:25], v[44:47]// 000000003ED8: D3E1002C 1CB23150
	v_mfma_f32_16x16x16_bf16 v[44:47], a[82:83], a[26:27], v[44:47]// 000000003EE0: D3E1002C 1CB23552
	v_mfma_f32_16x16x16_bf16 v[44:47], a[84:85], a[28:29], v[44:47]// 000000003EE8: D3E1002C 1CB23954
	v_mfma_f32_16x16x16_bf16 v[44:47], a[86:87], a[30:31], v[44:47]// 000000003EF0: D3E1002C 1CB23D56
	s_addk_i32 s33, 0x40                                       // 000000003EF8: B7210040
	s_cmp_lt_i32 s33, s34                                      // 000000003EFC: BF042221
	s_cbranch_scc0 label_06AE                                  // 000000003F00: BF84012D
	s_waitcnt vmcnt(10) lgkmcnt(0)                             // 000000003F04: BF8C007A
	s_barrier                                                  // 000000003F08: BF8A0000
	v_mfma_f32_16x16x16_bf16 v[32:35], a[64:65], a[32:33], v[32:35]// 000000003F0C: D3E10020 1C824140
	s_add_u32 m0, 0, s42                                       // 000000003F14: 807C2A80
	buffer_load_dword v17, s[4:7], 0 offen lds                 // 000000003F18: E0511000 80010011
	ds_read_b128 a[0:3], v25 offset:8320                       // 000000003F20: DBFE2080 00000019
	ds_read_b128 a[4:7], v25 offset:8384                       // 000000003F28: DBFE20C0 04000019
	v_mfma_f32_16x16x16_bf16 v[32:35], a[66:67], a[34:35], v[32:35]// 000000003F30: D3E10020 1C824542
	s_add_u32 m0, 0x100, s42                                   // 000000003F38: 807C2AFF 00000100
	buffer_load_dword v18, s[4:7], 0 offen lds                 // 000000003F40: E0511000 80010012
	v_mfma_f32_16x16x16_bf16 v[32:35], a[68:69], a[36:37], v[32:35]// 000000003F48: D3E10020 1C824944
	s_add_u32 m0, 0x200, s42                                   // 000000003F50: 807C2AFF 00000200
	buffer_load_dword v19, s[4:7], 0 offen lds                 // 000000003F58: E0511000 80010013
	ds_read_b128 a[8:11], v25 offset:8832                      // 000000003F60: DBFE2280 08000019
	ds_read_b128 a[12:15], v25 offset:8896                     // 000000003F68: DBFE22C0 0C000019
	v_mfma_f32_16x16x16_bf16 v[32:35], a[70:71], a[38:39], v[32:35]// 000000003F70: D3E10020 1C824D46
	s_add_u32 m0, 0x300, s42                                   // 000000003F78: 807C2AFF 00000300
	buffer_load_dword v20, s[4:7], 0 offen lds                 // 000000003F80: E0511000 80010014
	v_mfma_f32_16x16x16_bf16 v[36:39], a[64:65], a[40:41], v[36:39]// 000000003F88: D3E10024 1C925140
	s_add_u32 m0, 0x400, s42                                   // 000000003F90: 807C2AFF 00000400
	buffer_load_dword v21, s[4:7], 0 offen lds                 // 000000003F98: E0511000 80010015
	ds_read_b128 a[16:19], v25 offset:9344                     // 000000003FA0: DBFE2480 10000019
	ds_read_b128 a[20:23], v25 offset:9408                     // 000000003FA8: DBFE24C0 14000019
	v_mfma_f32_16x16x16_bf16 v[36:39], a[66:67], a[42:43], v[36:39]// 000000003FB0: D3E10024 1C925542
	s_add_u32 m0, 0x500, s42                                   // 000000003FB8: 807C2AFF 00000500
	buffer_load_dword v22, s[4:7], 0 offen lds                 // 000000003FC0: E0511000 80010016
	v_mfma_f32_16x16x16_bf16 v[36:39], a[68:69], a[44:45], v[36:39]// 000000003FC8: D3E10024 1C925944
	s_add_u32 m0, 0x600, s42                                   // 000000003FD0: 807C2AFF 00000600
	buffer_load_dword v23, s[4:7], 0 offen lds                 // 000000003FD8: E0511000 80010017
	ds_read_b128 a[24:27], v25 offset:9856                     // 000000003FE0: DBFE2680 18000019
	ds_read_b128 a[28:31], v25 offset:9920                     // 000000003FE8: DBFE26C0 1C000019
	v_mfma_f32_16x16x16_bf16 v[36:39], a[70:71], a[46:47], v[36:39]// 000000003FF0: D3E10024 1C925D46
	s_add_u32 m0, 0x700, s42                                   // 000000003FF8: 807C2AFF 00000700
	buffer_load_dword v24, s[4:7], 0 offen lds                 // 000000004000: E0511000 80010018
	v_mfma_f32_16x16x16_bf16 v[40:43], a[64:65], a[48:49], v[40:43]// 000000004008: D3E10028 1CA26140
	s_add_u32 s31, 0x100, s33                                  // 000000004010: 801F21FF 00000100
	s_cmp_lt_u32 s31, s34                                      // 000000004018: BF0A221F
	s_cselect_b32 s40, s40, 0                                  // 00000000401C: 85288028
	buffer_load_dwordx4 a[80:83], v26, s[8:11], 0 offen        // 000000004020: E05C1000 8082501A
	s_add_u32 s4, s40, s4                                      // 000000004028: 80040428
	s_addc_u32 s5, 0, s5                                       // 00000000402C: 82050580
	v_mfma_f32_16x16x16_bf16 v[40:43], a[66:67], a[50:51], v[40:43]// 000000004030: D3E10028 1CA26542
	buffer_load_dwordx4 a[84:87], v27, s[8:11], 0 offen        // 000000004038: E05C1000 8082541B
	v_mfma_f32_16x16x16_bf16 v[40:43], a[68:69], a[52:53], v[40:43]// 000000004040: D3E10028 1CA26944
	s_add_u32 s31, 0xc0, s33                                   // 000000004048: 801F21FF 000000C0
	s_cmp_lt_u32 s31, s34                                      // 000000004050: BF0A221F
	s_cselect_b32 s41, s41, 0                                  // 000000004054: 85298029
	s_add_u32 s8, s41, s8                                      // 000000004058: 80080829
	s_addc_u32 s9, 0, s9                                       // 00000000405C: 82090980
	v_mfma_f32_16x16x16_bf16 v[40:43], a[70:71], a[54:55], v[40:43]// 000000004060: D3E10028 1CA26D46
	v_mfma_f32_16x16x16_bf16 v[44:47], a[64:65], a[56:57], v[44:47]// 000000004068: D3E1002C 1CB27140
	v_mfma_f32_16x16x16_bf16 v[44:47], a[66:67], a[58:59], v[44:47]// 000000004070: D3E1002C 1CB27542
	v_mfma_f32_16x16x16_bf16 v[44:47], a[68:69], a[60:61], v[44:47]// 000000004078: D3E1002C 1CB27944
	v_mfma_f32_16x16x16_bf16 v[44:47], a[70:71], a[62:63], v[44:47]// 000000004080: D3E1002C 1CB27D46
	s_addk_i32 s33, 0x40                                       // 000000004088: B7210040
	s_cmp_lt_i32 s33, s34                                      // 00000000408C: BF042221
	s_cbranch_scc0 label_06AE                                  // 000000004090: BF8400C9
	s_waitcnt vmcnt(10) lgkmcnt(0)                             // 000000004094: BF8C007A
	s_barrier                                                  // 000000004098: BF8A0000
	v_mfma_f32_16x16x16_bf16 v[32:35], a[72:73], a[0:1], v[32:35]// 00000000409C: D3E10020 1C820148
	s_add_u32 m0, 0, s43                                       // 0000000040A4: 807C2B80
	buffer_load_dword v17, s[4:7], 0 offen lds                 // 0000000040A8: E0511000 80010011
	ds_read_b128 a[32:35], v25 offset:16640                    // 0000000040B0: DBFE4100 20000019
	ds_read_b128 a[36:39], v25 offset:16704                    // 0000000040B8: DBFE4140 24000019
	v_mfma_f32_16x16x16_bf16 v[32:35], a[74:75], a[2:3], v[32:35]// 0000000040C0: D3E10020 1C82054A
	s_add_u32 m0, 0x100, s43                                   // 0000000040C8: 807C2BFF 00000100
	buffer_load_dword v18, s[4:7], 0 offen lds                 // 0000000040D0: E0511000 80010012
	v_mfma_f32_16x16x16_bf16 v[32:35], a[76:77], a[4:5], v[32:35]// 0000000040D8: D3E10020 1C82094C
	s_add_u32 m0, 0x200, s43                                   // 0000000040E0: 807C2BFF 00000200
	buffer_load_dword v19, s[4:7], 0 offen lds                 // 0000000040E8: E0511000 80010013
	ds_read_b128 a[40:43], v25 offset:17152                    // 0000000040F0: DBFE4300 28000019
	ds_read_b128 a[44:47], v25 offset:17216                    // 0000000040F8: DBFE4340 2C000019
	v_mfma_f32_16x16x16_bf16 v[32:35], a[78:79], a[6:7], v[32:35]// 000000004100: D3E10020 1C820D4E
	s_add_u32 m0, 0x300, s43                                   // 000000004108: 807C2BFF 00000300
	buffer_load_dword v20, s[4:7], 0 offen lds                 // 000000004110: E0511000 80010014
	v_mfma_f32_16x16x16_bf16 v[36:39], a[72:73], a[8:9], v[36:39]// 000000004118: D3E10024 1C921148
	s_add_u32 m0, 0x400, s43                                   // 000000004120: 807C2BFF 00000400
	buffer_load_dword v21, s[4:7], 0 offen lds                 // 000000004128: E0511000 80010015
	ds_read_b128 a[48:51], v25 offset:17664                    // 000000004130: DBFE4500 30000019
	ds_read_b128 a[52:55], v25 offset:17728                    // 000000004138: DBFE4540 34000019
	v_mfma_f32_16x16x16_bf16 v[36:39], a[74:75], a[10:11], v[36:39]// 000000004140: D3E10024 1C92154A
	s_add_u32 m0, 0x500, s43                                   // 000000004148: 807C2BFF 00000500
	buffer_load_dword v22, s[4:7], 0 offen lds                 // 000000004150: E0511000 80010016
	v_mfma_f32_16x16x16_bf16 v[36:39], a[76:77], a[12:13], v[36:39]// 000000004158: D3E10024 1C92194C
	s_add_u32 m0, 0x600, s43                                   // 000000004160: 807C2BFF 00000600
	buffer_load_dword v23, s[4:7], 0 offen lds                 // 000000004168: E0511000 80010017
	ds_read_b128 a[56:59], v25 offset:18176                    // 000000004170: DBFE4700 38000019
	ds_read_b128 a[60:63], v25 offset:18240                    // 000000004178: DBFE4740 3C000019
	v_mfma_f32_16x16x16_bf16 v[36:39], a[78:79], a[14:15], v[36:39]// 000000004180: D3E10024 1C921D4E
	s_add_u32 m0, 0x700, s43                                   // 000000004188: 807C2BFF 00000700
	buffer_load_dword v24, s[4:7], 0 offen lds                 // 000000004190: E0511000 80010018
	v_mfma_f32_16x16x16_bf16 v[40:43], a[72:73], a[16:17], v[40:43]// 000000004198: D3E10028 1CA22148
	s_add_u32 s31, 0x100, s33                                  // 0000000041A0: 801F21FF 00000100
	s_cmp_lt_u32 s31, s34                                      // 0000000041A8: BF0A221F
	s_cselect_b32 s40, s40, 0                                  // 0000000041AC: 85288028
	buffer_load_dwordx4 a[64:67], v26, s[8:11], 0 offen        // 0000000041B0: E05C1000 8082401A
	s_add_u32 s4, s40, s4                                      // 0000000041B8: 80040428
	s_addc_u32 s5, 0, s5                                       // 0000000041BC: 82050580
	v_mfma_f32_16x16x16_bf16 v[40:43], a[74:75], a[18:19], v[40:43]// 0000000041C0: D3E10028 1CA2254A
	buffer_load_dwordx4 a[68:71], v27, s[8:11], 0 offen        // 0000000041C8: E05C1000 8082441B
	v_mfma_f32_16x16x16_bf16 v[40:43], a[76:77], a[20:21], v[40:43]// 0000000041D0: D3E10028 1CA2294C
	s_add_u32 s31, 0xc0, s33                                   // 0000000041D8: 801F21FF 000000C0
	s_cmp_lt_u32 s31, s34                                      // 0000000041E0: BF0A221F
	s_cselect_b32 s41, s41, 0                                  // 0000000041E4: 85298029
	s_add_u32 s8, s41, s8                                      // 0000000041E8: 80080829
	s_addc_u32 s9, 0, s9                                       // 0000000041EC: 82090980
	v_mfma_f32_16x16x16_bf16 v[40:43], a[78:79], a[22:23], v[40:43]// 0000000041F0: D3E10028 1CA22D4E
	v_mfma_f32_16x16x16_bf16 v[44:47], a[72:73], a[24:25], v[44:47]// 0000000041F8: D3E1002C 1CB23148
	v_mfma_f32_16x16x16_bf16 v[44:47], a[74:75], a[26:27], v[44:47]// 000000004200: D3E1002C 1CB2354A
	v_mfma_f32_16x16x16_bf16 v[44:47], a[76:77], a[28:29], v[44:47]// 000000004208: D3E1002C 1CB2394C
	v_mfma_f32_16x16x16_bf16 v[44:47], a[78:79], a[30:31], v[44:47]// 000000004210: D3E1002C 1CB23D4E
	s_addk_i32 s33, 0x40                                       // 000000004218: B7210040
	s_cmp_lt_i32 s33, s34                                      // 00000000421C: BF042221
	s_cbranch_scc0 label_06AE                                  // 000000004220: BF840065
	s_waitcnt vmcnt(10) lgkmcnt(0)                             // 000000004224: BF8C007A
	s_barrier                                                  // 000000004228: BF8A0000
	v_mfma_f32_16x16x16_bf16 v[32:35], a[80:81], a[32:33], v[32:35]// 00000000422C: D3E10020 1C824150
	s_add_u32 m0, 0, s44                                       // 000000004234: 807C2C80
	buffer_load_dword v17, s[4:7], 0 offen lds                 // 000000004238: E0511000 80010011
	ds_read_b128 a[0:3], v25                                   // 000000004240: DBFE0000 00000019
	ds_read_b128 a[4:7], v25 offset:64                         // 000000004248: DBFE0040 04000019
	v_mfma_f32_16x16x16_bf16 v[32:35], a[82:83], a[34:35], v[32:35]// 000000004250: D3E10020 1C824552
	s_add_u32 m0, 0x100, s44                                   // 000000004258: 807C2CFF 00000100
	buffer_load_dword v18, s[4:7], 0 offen lds                 // 000000004260: E0511000 80010012
	v_mfma_f32_16x16x16_bf16 v[32:35], a[84:85], a[36:37], v[32:35]// 000000004268: D3E10020 1C824954
	s_add_u32 m0, 0x200, s44                                   // 000000004270: 807C2CFF 00000200
	buffer_load_dword v19, s[4:7], 0 offen lds                 // 000000004278: E0511000 80010013
	ds_read_b128 a[8:11], v25 offset:512                       // 000000004280: DBFE0200 08000019
	ds_read_b128 a[12:15], v25 offset:576                      // 000000004288: DBFE0240 0C000019
	v_mfma_f32_16x16x16_bf16 v[32:35], a[86:87], a[38:39], v[32:35]// 000000004290: D3E10020 1C824D56
	s_add_u32 m0, 0x300, s44                                   // 000000004298: 807C2CFF 00000300
	buffer_load_dword v20, s[4:7], 0 offen lds                 // 0000000042A0: E0511000 80010014
	v_mfma_f32_16x16x16_bf16 v[36:39], a[80:81], a[40:41], v[36:39]// 0000000042A8: D3E10024 1C925150
	s_add_u32 m0, 0x400, s44                                   // 0000000042B0: 807C2CFF 00000400
	buffer_load_dword v21, s[4:7], 0 offen lds                 // 0000000042B8: E0511000 80010015
	ds_read_b128 a[16:19], v25 offset:1024                     // 0000000042C0: DBFE0400 10000019
	ds_read_b128 a[20:23], v25 offset:1088                     // 0000000042C8: DBFE0440 14000019
	v_mfma_f32_16x16x16_bf16 v[36:39], a[82:83], a[42:43], v[36:39]// 0000000042D0: D3E10024 1C925552
	s_add_u32 m0, 0x500, s44                                   // 0000000042D8: 807C2CFF 00000500
	buffer_load_dword v22, s[4:7], 0 offen lds                 // 0000000042E0: E0511000 80010016
	v_mfma_f32_16x16x16_bf16 v[36:39], a[84:85], a[44:45], v[36:39]// 0000000042E8: D3E10024 1C925954
	s_add_u32 m0, 0x600, s44                                   // 0000000042F0: 807C2CFF 00000600
	buffer_load_dword v23, s[4:7], 0 offen lds                 // 0000000042F8: E0511000 80010017
	ds_read_b128 a[24:27], v25 offset:1536                     // 000000004300: DBFE0600 18000019
	ds_read_b128 a[28:31], v25 offset:1600                     // 000000004308: DBFE0640 1C000019
	v_mfma_f32_16x16x16_bf16 v[36:39], a[86:87], a[46:47], v[36:39]// 000000004310: D3E10024 1C925D56
	s_add_u32 m0, 0x700, s44                                   // 000000004318: 807C2CFF 00000700
	buffer_load_dword v24, s[4:7], 0 offen lds                 // 000000004320: E0511000 80010018
	v_mfma_f32_16x16x16_bf16 v[40:43], a[80:81], a[48:49], v[40:43]// 000000004328: D3E10028 1CA26150
	s_add_u32 s31, 0x100, s33                                  // 000000004330: 801F21FF 00000100
	s_cmp_lt_u32 s31, s34                                      // 000000004338: BF0A221F
	s_cselect_b32 s40, s40, 0                                  // 00000000433C: 85288028
	buffer_load_dwordx4 a[72:75], v26, s[8:11], 0 offen        // 000000004340: E05C1000 8082481A
	s_add_u32 s4, s40, s4                                      // 000000004348: 80040428
	s_addc_u32 s5, 0, s5                                       // 00000000434C: 82050580
	v_mfma_f32_16x16x16_bf16 v[40:43], a[82:83], a[50:51], v[40:43]// 000000004350: D3E10028 1CA26552
	buffer_load_dwordx4 a[76:79], v27, s[8:11], 0 offen        // 000000004358: E05C1000 80824C1B
	v_mfma_f32_16x16x16_bf16 v[40:43], a[84:85], a[52:53], v[40:43]// 000000004360: D3E10028 1CA26954
	s_add_u32 s31, 0xc0, s33                                   // 000000004368: 801F21FF 000000C0
	s_cmp_lt_u32 s31, s34                                      // 000000004370: BF0A221F
	s_cselect_b32 s41, s41, 0                                  // 000000004374: 85298029
	s_add_u32 s8, s41, s8                                      // 000000004378: 80080829
	s_addc_u32 s9, 0, s9                                       // 00000000437C: 82090980
	v_mfma_f32_16x16x16_bf16 v[40:43], a[86:87], a[54:55], v[40:43]// 000000004380: D3E10028 1CA26D56
	v_mfma_f32_16x16x16_bf16 v[44:47], a[80:81], a[56:57], v[44:47]// 000000004388: D3E1002C 1CB27150
	v_mfma_f32_16x16x16_bf16 v[44:47], a[82:83], a[58:59], v[44:47]// 000000004390: D3E1002C 1CB27552
	v_mfma_f32_16x16x16_bf16 v[44:47], a[84:85], a[60:61], v[44:47]// 000000004398: D3E1002C 1CB27954
	v_mfma_f32_16x16x16_bf16 v[44:47], a[86:87], a[62:63], v[44:47]// 0000000043A0: D3E1002C 1CB27D56
	s_addk_i32 s33, 0x40                                       // 0000000043A8: B7210040
	s_cmp_lt_i32 s33, s34                                      // 0000000043AC: BF042221
	s_cbranch_scc0 label_06AE                                  // 0000000043B0: BF840001
	s_branch label_0455                                        // 0000000043B4: BF82FDA7

00000000000043b8 <label_06AE>:
	s_cmp_le_u32 s48, 1                                        // 0000000043B8: BF0B8130
	s_cbranch_scc1 label_0A11                                  // 0000000043BC: BF850361
	s_mov_b32 s31, 64                                          // 0000000043C0: BE9F00C0
	s_cmp_lt_u32 s51, s31                                      // 0000000043C4: BF0A1F33
	s_cbranch_scc1 label_0800                                  // 0000000043C8: BF85014D
	v_mov_b32_e32 v5, 0                                        // 0000000043CC: 7E0A0280
	s_and_b32 s17, s17, 0xffff                                 // 0000000043D0: 8611FF11 0000FFFF
	s_cmp_lt_u32 s50, 1                                        // 0000000043D8: BF0A8132
	s_cbranch_scc0 label_073B                                  // 0000000043DC: BF840083
	v_lshrrev_b32_e32 v4, 4, v0                                // 0000000043E0: 20080084
	v_mul_u32_u24_e32 v25, 0x44, v4                            // 0000000043E4: 103208FF 00000044
	v_and_b32_e32 v4, 15, v0                                   // 0000000043EC: 2608008F
	v_mul_lo_u32 v5, 4, v4                                     // 0000000043F0: D2850005 00020884
	v_add_u32_e32 v25, v5, v25                                 // 0000000043F8: 68323305
	s_mul_i32 s31, s24, 0x110                                  // 0000000043FC: 921FFF18 00000110
	v_add_u32_e32 v25, s31, v25                                // 000000004404: 6832321F
	v_lshlrev_b32_e32 v25, 2, v25                              // 000000004408: 24323282
	v_lshrrev_b32_e32 v4, 2, v0                                // 00000000440C: 20080082
	v_mul_u32_u24_e32 v28, 0x44, v4                            // 000000004410: 103808FF 00000044
	v_and_b32_e32 v4, 3, v0                                    // 000000004418: 26080083
	v_add_u32_e32 v28, v4, v28                                 // 00000000441C: 68383904
	s_mul_i32 s31, s24, 4                                      // 000000004420: 921F8418
	v_add_u32_e32 v28, s31, v28                                // 000000004424: 6838381F
	v_lshlrev_b32_e32 v28, 2, v28                              // 000000004428: 24383882
	s_waitcnt vmcnt(0) expcnt(0) lgkmcnt(0)                    // 00000000442C: BF8C0000
	s_barrier                                                  // 000000004430: BF8A0000
	ds_write_b128 v25, v[32:35]                                // 000000004434: D9BE0000 00002019
	ds_write_b128 v25, v[36:39] offset:4352                    // 00000000443C: D9BE1100 00002419
	ds_write_b128 v25, v[40:43] offset:8704                    // 000000004444: D9BE2200 00002819
	ds_write_b128 v25, v[44:47] offset:13056                   // 00000000444C: D9BE3300 00002C19
	s_waitcnt lgkmcnt(0)                                       // 000000004454: BF8CC07F
	s_barrier                                                  // 000000004458: BF8A0000
	ds_read_b32 v32, v28                                       // 00000000445C: D86C0000 2000001C
	ds_read_b32 v33, v28 offset:64                             // 000000004464: D86C0040 2100001C
	ds_read_b32 v34, v28 offset:128                            // 00000000446C: D86C0080 2200001C
	ds_read_b32 v35, v28 offset:192                            // 000000004474: D86C00C0 2300001C
	ds_read_b32 v36, v28 offset:4352                           // 00000000447C: D86C1100 2400001C
	ds_read_b32 v37, v28 offset:4416                           // 000000004484: D86C1140 2500001C
	ds_read_b32 v38, v28 offset:4480                           // 00000000448C: D86C1180 2600001C
	ds_read_b32 v39, v28 offset:4544                           // 000000004494: D86C11C0 2700001C
	ds_read_b32 v40, v28 offset:8704                           // 00000000449C: D86C2200 2800001C
	ds_read_b32 v41, v28 offset:8768                           // 0000000044A4: D86C2240 2900001C
	ds_read_b32 v42, v28 offset:8832                           // 0000000044AC: D86C2280 2A00001C
	ds_read_b32 v43, v28 offset:8896                           // 0000000044B4: D86C22C0 2B00001C
	ds_read_b32 v44, v28 offset:13056                          // 0000000044BC: D86C3300 2C00001C
	ds_read_b32 v45, v28 offset:13120                          // 0000000044C4: D86C3340 2D00001C
	ds_read_b32 v46, v28 offset:13184                          // 0000000044CC: D86C3380 2E00001C
	ds_read_b32 v47, v28 offset:13248                          // 0000000044D4: D86C33C0 2F00001C
	s_waitcnt lgkmcnt(0)                                       // 0000000044DC: BF8CC07F
	s_mul_i32 s31, s30, 4                                      // 0000000044E0: 921F841E
	v_mov_b32_e32 v4, v16                                      // 0000000044E4: 7E080310
	global_atomic_add_f32 v4, v32, s[16:17]                    // 0000000044E8: DD348000 00102004
	v_add_u32_e64 v4, v4, s31                                  // 0000000044F0: D1340004 00003F04
	global_atomic_add_f32 v4, v33, s[16:17]                    // 0000000044F8: DD348000 00102104
	v_add_u32_e64 v4, v4, s31                                  // 000000004500: D1340004 00003F04
	global_atomic_add_f32 v4, v34, s[16:17]                    // 000000004508: DD348000 00102204
	v_add_u32_e64 v4, v4, s31                                  // 000000004510: D1340004 00003F04
	global_atomic_add_f32 v4, v35, s[16:17]                    // 000000004518: DD348000 00102304
	;; [unrolled: 2-line block ×8, first 2 shown]
	v_add_u32_e64 v4, v4, s31                                  // 000000004580: D1340004 00003F04
	global_atomic_add_f32 v4, v42, s[16:17]                    // 000000004588: DD348000 00102A04
	v_add_u32_e64 v4, v4, s31                                  // 000000004590: D1340004 00003F04
	global_atomic_add_f32 v4, v43, s[16:17]                    // 000000004598: DD348000 00102B04
	v_add_u32_e64 v4, v4, s31                                  // 0000000045A0: D1340004 00003F04
	global_atomic_add_f32 v4, v44, s[16:17]                    // 0000000045A8: DD348000 00102C04
	v_add_u32_e64 v4, v4, s31                                  // 0000000045B0: D1340004 00003F04
	global_atomic_add_f32 v4, v45, s[16:17]                    // 0000000045B8: DD348000 00102D04
	v_add_u32_e64 v4, v4, s31                                  // 0000000045C0: D1340004 00003F04
	global_atomic_add_f32 v4, v46, s[16:17]                    // 0000000045C8: DD348000 00102E04
	v_add_u32_e64 v4, v4, s31                                  // 0000000045D0: D1340004 00003F04
	global_atomic_add_f32 v4, v47, s[16:17]                    // 0000000045D8: DD348000 00102F04
	v_add_u32_e64 v4, v4, s31                                  // 0000000045E0: D1340004 00003F04
	s_branch label_0A94                                        // 0000000045E8: BF820359

00000000000045ec <label_073B>:
	v_lshrrev_b32_e32 v4, 4, v0                                // 0000000045EC: 20080084
	v_mul_u32_u24_e32 v25, 34, v4                              // 0000000045F0: 103208A2
	v_and_b32_e32 v4, 15, v0                                   // 0000000045F4: 2608008F
	v_mul_lo_u32 v5, 2, v4                                     // 0000000045F8: D2850005 00020882
	v_add_u32_e32 v25, v5, v25                                 // 000000004600: 68323305
	s_mul_i32 s31, s24, 0x88                                   // 000000004604: 921FFF18 00000088
	v_add_u32_e32 v25, s31, v25                                // 00000000460C: 6832321F
	v_lshlrev_b32_e32 v25, 2, v25                              // 000000004610: 24323282
	v_and_b32_e32 v4, 31, v0                                   // 000000004614: 2608009F
	v_lshrrev_b32_e32 v5, 1, v4                                // 000000004618: 200A0881
	v_mul_u32_u24_e32 v28, 34, v5                              // 00000000461C: 10380AA2
	v_and_b32_e32 v5, 1, v4                                    // 000000004620: 260A0881
	v_add_u32_e32 v28, v5, v28                                 // 000000004624: 68383905
	v_lshrrev_b32_e32 v4, 5, v0                                // 000000004628: 20080085
	v_mul_u32_u24_e32 v4, 8, v4                                // 00000000462C: 10080888
	v_add_u32_e32 v28, v4, v28                                 // 000000004630: 68383904
	s_mul_i32 s31, s24, 2                                      // 000000004634: 921F8218
	v_add_u32_e32 v28, s31, v28                                // 000000004638: 6838381F
	v_lshlrev_b32_e32 v28, 2, v28                              // 00000000463C: 24383882
	s_waitcnt vmcnt(0) expcnt(0) lgkmcnt(0)                    // 000000004640: BF8C0000
	s_barrier                                                  // 000000004644: BF8A0000
	v_cmp_u_f32_e64 s[56:57], v32, v32                         // 000000004648: D0480038 00024120
	v_add3_u32 v8, v32, v11, 1                                 // 000000004650: D1FF0008 02061720
	v_cndmask_b32_e64 v4, v8, v10, s[56:57]                    // 000000004658: D1000004 00E21508
	v_cmp_u_f32_e64 s[56:57], v33, v33                         // 000000004660: D0480038 00024321
	v_add3_u32 v8, v33, v11, 1                                 // 000000004668: D1FF0008 02061721
	v_cndmask_b32_e64 v5, v8, v10, s[56:57]                    // 000000004670: D1000005 00E21508
	v_perm_b32 v48, v5, v4, s35                                // 000000004678: D1ED0030 008E0905
	v_cmp_u_f32_e64 s[56:57], v34, v34                         // 000000004680: D0480038 00024522
	v_add3_u32 v8, v34, v11, 1                                 // 000000004688: D1FF0008 02061722
	v_cndmask_b32_e64 v4, v8, v10, s[56:57]                    // 000000004690: D1000004 00E21508
	v_cmp_u_f32_e64 s[56:57], v35, v35                         // 000000004698: D0480038 00024723
	v_add3_u32 v8, v35, v11, 1                                 // 0000000046A0: D1FF0008 02061723
	v_cndmask_b32_e64 v5, v8, v10, s[56:57]                    // 0000000046A8: D1000005 00E21508
	v_perm_b32 v49, v5, v4, s35                                // 0000000046B0: D1ED0031 008E0905
	v_cmp_u_f32_e64 s[56:57], v36, v36                         // 0000000046B8: D0480038 00024924
	v_add3_u32 v8, v36, v11, 1                                 // 0000000046C0: D1FF0008 02061724
	v_cndmask_b32_e64 v4, v8, v10, s[56:57]                    // 0000000046C8: D1000004 00E21508
	v_cmp_u_f32_e64 s[56:57], v37, v37                         // 0000000046D0: D0480038 00024B25
	v_add3_u32 v8, v37, v11, 1                                 // 0000000046D8: D1FF0008 02061725
	v_cndmask_b32_e64 v5, v8, v10, s[56:57]                    // 0000000046E0: D1000005 00E21508
	v_perm_b32 v50, v5, v4, s35                                // 0000000046E8: D1ED0032 008E0905
	v_cmp_u_f32_e64 s[56:57], v38, v38                         // 0000000046F0: D0480038 00024D26
	v_add3_u32 v8, v38, v11, 1                                 // 0000000046F8: D1FF0008 02061726
	v_cndmask_b32_e64 v4, v8, v10, s[56:57]                    // 000000004700: D1000004 00E21508
	v_cmp_u_f32_e64 s[56:57], v39, v39                         // 000000004708: D0480038 00024F27
	v_add3_u32 v8, v39, v11, 1                                 // 000000004710: D1FF0008 02061727
	v_cndmask_b32_e64 v5, v8, v10, s[56:57]                    // 000000004718: D1000005 00E21508
	v_perm_b32 v51, v5, v4, s35                                // 000000004720: D1ED0033 008E0905
	v_cmp_u_f32_e64 s[56:57], v40, v40                         // 000000004728: D0480038 00025128
	v_add3_u32 v8, v40, v11, 1                                 // 000000004730: D1FF0008 02061728
	v_cndmask_b32_e64 v4, v8, v10, s[56:57]                    // 000000004738: D1000004 00E21508
	v_cmp_u_f32_e64 s[56:57], v41, v41                         // 000000004740: D0480038 00025329
	v_add3_u32 v8, v41, v11, 1                                 // 000000004748: D1FF0008 02061729
	v_cndmask_b32_e64 v5, v8, v10, s[56:57]                    // 000000004750: D1000005 00E21508
	v_perm_b32 v52, v5, v4, s35                                // 000000004758: D1ED0034 008E0905
	v_cmp_u_f32_e64 s[56:57], v42, v42                         // 000000004760: D0480038 0002552A
	v_add3_u32 v8, v42, v11, 1                                 // 000000004768: D1FF0008 0206172A
	v_cndmask_b32_e64 v4, v8, v10, s[56:57]                    // 000000004770: D1000004 00E21508
	v_cmp_u_f32_e64 s[56:57], v43, v43                         // 000000004778: D0480038 0002572B
	v_add3_u32 v8, v43, v11, 1                                 // 000000004780: D1FF0008 0206172B
	v_cndmask_b32_e64 v5, v8, v10, s[56:57]                    // 000000004788: D1000005 00E21508
	v_perm_b32 v53, v5, v4, s35                                // 000000004790: D1ED0035 008E0905
	v_cmp_u_f32_e64 s[56:57], v44, v44                         // 000000004798: D0480038 0002592C
	v_add3_u32 v8, v44, v11, 1                                 // 0000000047A0: D1FF0008 0206172C
	v_cndmask_b32_e64 v4, v8, v10, s[56:57]                    // 0000000047A8: D1000004 00E21508
	v_cmp_u_f32_e64 s[56:57], v45, v45                         // 0000000047B0: D0480038 00025B2D
	v_add3_u32 v8, v45, v11, 1                                 // 0000000047B8: D1FF0008 0206172D
	v_cndmask_b32_e64 v5, v8, v10, s[56:57]                    // 0000000047C0: D1000005 00E21508
	v_perm_b32 v54, v5, v4, s35                                // 0000000047C8: D1ED0036 008E0905
	v_cmp_u_f32_e64 s[56:57], v46, v46                         // 0000000047D0: D0480038 00025D2E
	v_add3_u32 v8, v46, v11, 1                                 // 0000000047D8: D1FF0008 0206172E
	v_cndmask_b32_e64 v4, v8, v10, s[56:57]                    // 0000000047E0: D1000004 00E21508
	v_cmp_u_f32_e64 s[56:57], v47, v47                         // 0000000047E8: D0480038 00025F2F
	v_add3_u32 v8, v47, v11, 1                                 // 0000000047F0: D1FF0008 0206172F
	v_cndmask_b32_e64 v5, v8, v10, s[56:57]                    // 0000000047F8: D1000005 00E21508
	v_perm_b32 v55, v5, v4, s35                                // 000000004800: D1ED0037 008E0905
	ds_write_b64 v25, v[48:49]                                 // 000000004808: D89A0000 00003019
	ds_write_b64 v25, v[50:51] offset:2176                     // 000000004810: D89A0880 00003219
	ds_write_b64 v25, v[52:53] offset:4352                     // 000000004818: D89A1100 00003419
	ds_write_b64 v25, v[54:55] offset:6528                     // 000000004820: D89A1980 00003619
	s_waitcnt lgkmcnt(0)                                       // 000000004828: BF8CC07F
	s_barrier                                                  // 00000000482C: BF8A0000
	ds_read_b32 v48, v28                                       // 000000004830: D86C0000 3000001C
	ds_read_b32 v49, v28 offset:64                             // 000000004838: D86C0040 3100001C
	ds_read_b32 v50, v28 offset:2176                           // 000000004840: D86C0880 3200001C
	ds_read_b32 v51, v28 offset:2240                           // 000000004848: D86C08C0 3300001C
	ds_read_b32 v52, v28 offset:4352                           // 000000004850: D86C1100 3400001C
	ds_read_b32 v53, v28 offset:4416                           // 000000004858: D86C1140 3500001C
	ds_read_b32 v54, v28 offset:6528                           // 000000004860: D86C1980 3600001C
	ds_read_b32 v55, v28 offset:6592                           // 000000004868: D86C19C0 3700001C
	s_waitcnt lgkmcnt(0)                                       // 000000004870: BF8CC07F
	s_mul_i32 s31, s30, 8                                      // 000000004874: 921F881E
	v_mov_b32_e32 v4, v16                                      // 000000004878: 7E080310
	global_atomic_pk_add_bf16 v4, v48, s[16:17]                // 00000000487C: DD488000 00103004
	v_add_u32_e64 v4, v4, s31                                  // 000000004884: D1340004 00003F04
	global_atomic_pk_add_bf16 v4, v49, s[16:17]                // 00000000488C: DD488000 00103104
	v_add_u32_e64 v4, v4, s31                                  // 000000004894: D1340004 00003F04
	global_atomic_pk_add_bf16 v4, v50, s[16:17]                // 00000000489C: DD488000 00103204
	v_add_u32_e64 v4, v4, s31                                  // 0000000048A4: D1340004 00003F04
	global_atomic_pk_add_bf16 v4, v51, s[16:17]                // 0000000048AC: DD488000 00103304
	v_add_u32_e64 v4, v4, s31                                  // 0000000048B4: D1340004 00003F04
	global_atomic_pk_add_bf16 v4, v52, s[16:17]                // 0000000048BC: DD488000 00103404
	v_add_u32_e64 v4, v4, s31                                  // 0000000048C4: D1340004 00003F04
	global_atomic_pk_add_bf16 v4, v53, s[16:17]                // 0000000048CC: DD488000 00103504
	v_add_u32_e64 v4, v4, s31                                  // 0000000048D4: D1340004 00003F04
	global_atomic_pk_add_bf16 v4, v54, s[16:17]                // 0000000048DC: DD488000 00103604
	v_add_u32_e64 v4, v4, s31                                  // 0000000048E4: D1340004 00003F04
	global_atomic_pk_add_bf16 v4, v55, s[16:17]                // 0000000048EC: DD488000 00103704
	v_add_u32_e64 v4, v4, s31                                  // 0000000048F4: D1340004 00003F04
	s_branch label_0A94                                        // 0000000048FC: BF820294

0000000000004900 <label_0800>:
	v_mov_b32_e32 v5, 0                                        // 000000004900: 7E0A0280
	s_and_b32 s17, s17, 0xffff                                 // 000000004904: 8611FF11 0000FFFF
	s_cmp_lt_u32 s50, 1                                        // 00000000490C: BF0A8132
	s_cbranch_scc0 label_08BE                                  // 000000004910: BF8400B9
	v_lshrrev_b32_e32 v4, 4, v0                                // 000000004914: 20080084
	v_mul_u32_u24_e32 v25, 0x44, v4                            // 000000004918: 103208FF 00000044
	v_and_b32_e32 v4, 15, v0                                   // 000000004920: 2608008F
	v_mul_lo_u32 v5, 4, v4                                     // 000000004924: D2850005 00020884
	v_add_u32_e32 v25, v5, v25                                 // 00000000492C: 68323305
	s_mul_i32 s31, s24, 0x110                                  // 000000004930: 921FFF18 00000110
	v_add_u32_e32 v25, s31, v25                                // 000000004938: 6832321F
	v_lshlrev_b32_e32 v25, 2, v25                              // 00000000493C: 24323282
	v_lshrrev_b32_e32 v4, 2, v0                                // 000000004940: 20080082
	v_mul_u32_u24_e32 v28, 0x44, v4                            // 000000004944: 103808FF 00000044
	v_and_b32_e32 v4, 3, v0                                    // 00000000494C: 26080083
	v_add_u32_e32 v28, v4, v28                                 // 000000004950: 68383904
	s_mul_i32 s31, s24, 4                                      // 000000004954: 921F8418
	v_add_u32_e32 v28, s31, v28                                // 000000004958: 6838381F
	v_lshlrev_b32_e32 v28, 2, v28                              // 00000000495C: 24383882
	s_lshr_b32 s31, s51, 2                                     // 000000004960: 8F1F8233
	s_and_b32 s32, s51, 3                                      // 000000004964: 86208333
	s_cmp_lt_u32 s24, s32                                      // 000000004968: BF0A2018
	s_cselect_b32 s32, 1, 0                                    // 00000000496C: 85208081
	s_add_u32 s51, s31, s32                                    // 000000004970: 8033201F
	s_mov_b32 s33, 0                                           // 000000004974: BEA10080
	s_waitcnt vmcnt(0) expcnt(0) lgkmcnt(0)                    // 000000004978: BF8C0000
	s_barrier                                                  // 00000000497C: BF8A0000
	ds_write_b128 v25, v[32:35]                                // 000000004980: D9BE0000 00002019
	ds_write_b128 v25, v[36:39] offset:4352                    // 000000004988: D9BE1100 00002419
	ds_write_b128 v25, v[40:43] offset:8704                    // 000000004990: D9BE2200 00002819
	ds_write_b128 v25, v[44:47] offset:13056                   // 000000004998: D9BE3300 00002C19
	s_waitcnt lgkmcnt(0)                                       // 0000000049A0: BF8CC07F
	s_barrier                                                  // 0000000049A4: BF8A0000
	ds_read_b32 v32, v28                                       // 0000000049A8: D86C0000 2000001C
	ds_read_b32 v33, v28 offset:64                             // 0000000049B0: D86C0040 2100001C
	ds_read_b32 v34, v28 offset:128                            // 0000000049B8: D86C0080 2200001C
	ds_read_b32 v35, v28 offset:192                            // 0000000049C0: D86C00C0 2300001C
	ds_read_b32 v36, v28 offset:4352                           // 0000000049C8: D86C1100 2400001C
	ds_read_b32 v37, v28 offset:4416                           // 0000000049D0: D86C1140 2500001C
	ds_read_b32 v38, v28 offset:4480                           // 0000000049D8: D86C1180 2600001C
	ds_read_b32 v39, v28 offset:4544                           // 0000000049E0: D86C11C0 2700001C
	ds_read_b32 v40, v28 offset:8704                           // 0000000049E8: D86C2200 2800001C
	ds_read_b32 v41, v28 offset:8768                           // 0000000049F0: D86C2240 2900001C
	ds_read_b32 v42, v28 offset:8832                           // 0000000049F8: D86C2280 2A00001C
	ds_read_b32 v43, v28 offset:8896                           // 000000004A00: D86C22C0 2B00001C
	ds_read_b32 v44, v28 offset:13056                          // 000000004A08: D86C3300 2C00001C
	ds_read_b32 v45, v28 offset:13120                          // 000000004A10: D86C3340 2D00001C
	ds_read_b32 v46, v28 offset:13184                          // 000000004A18: D86C3380 2E00001C
	ds_read_b32 v47, v28 offset:13248                          // 000000004A20: D86C33C0 2F00001C
	s_waitcnt lgkmcnt(0)                                       // 000000004A28: BF8CC07F
	s_mul_i32 s31, s30, 4                                      // 000000004A2C: 921F841E
	v_mov_b32_e32 v4, v16                                      // 000000004A30: 7E080310
	s_cmp_lt_i32 s33, s51                                      // 000000004A34: BF043321
	s_cbranch_scc0 label_0A94                                  // 000000004A38: BF840245
	global_atomic_add_f32 v4, v32, s[16:17]                    // 000000004A3C: DD348000 00102004
	v_add_u32_e64 v4, v4, s31                                  // 000000004A44: D1340004 00003F04
	s_addk_i32 s33, 0x1                                        // 000000004A4C: B7210001
	s_cmp_lt_i32 s33, s51                                      // 000000004A50: BF043321
	s_cbranch_scc0 label_0A94                                  // 000000004A54: BF84023E
	global_atomic_add_f32 v4, v33, s[16:17]                    // 000000004A58: DD348000 00102104
	v_add_u32_e64 v4, v4, s31                                  // 000000004A60: D1340004 00003F04
	s_addk_i32 s33, 0x1                                        // 000000004A68: B7210001
	s_cmp_lt_i32 s33, s51                                      // 000000004A6C: BF043321
	s_cbranch_scc0 label_0A94                                  // 000000004A70: BF840237
	global_atomic_add_f32 v4, v34, s[16:17]                    // 000000004A74: DD348000 00102204
	v_add_u32_e64 v4, v4, s31                                  // 000000004A7C: D1340004 00003F04
	s_addk_i32 s33, 0x1                                        // 000000004A84: B7210001
	s_cmp_lt_i32 s33, s51                                      // 000000004A88: BF043321
	s_cbranch_scc0 label_0A94                                  // 000000004A8C: BF840230
	global_atomic_add_f32 v4, v35, s[16:17]                    // 000000004A90: DD348000 00102304
	v_add_u32_e64 v4, v4, s31                                  // 000000004A98: D1340004 00003F04
	s_addk_i32 s33, 0x1                                        // 000000004AA0: B7210001
	s_cmp_lt_i32 s33, s51                                      // 000000004AA4: BF043321
	s_cbranch_scc0 label_0A94                                  // 000000004AA8: BF840229
	global_atomic_add_f32 v4, v36, s[16:17]                    // 000000004AAC: DD348000 00102404
	v_add_u32_e64 v4, v4, s31                                  // 000000004AB4: D1340004 00003F04
	s_addk_i32 s33, 0x1                                        // 000000004ABC: B7210001
	s_cmp_lt_i32 s33, s51                                      // 000000004AC0: BF043321
	s_cbranch_scc0 label_0A94                                  // 000000004AC4: BF840222
	global_atomic_add_f32 v4, v37, s[16:17]                    // 000000004AC8: DD348000 00102504
	v_add_u32_e64 v4, v4, s31                                  // 000000004AD0: D1340004 00003F04
	s_addk_i32 s33, 0x1                                        // 000000004AD8: B7210001
	s_cmp_lt_i32 s33, s51                                      // 000000004ADC: BF043321
	s_cbranch_scc0 label_0A94                                  // 000000004AE0: BF84021B
	global_atomic_add_f32 v4, v38, s[16:17]                    // 000000004AE4: DD348000 00102604
	v_add_u32_e64 v4, v4, s31                                  // 000000004AEC: D1340004 00003F04
	s_addk_i32 s33, 0x1                                        // 000000004AF4: B7210001
	s_cmp_lt_i32 s33, s51                                      // 000000004AF8: BF043321
	s_cbranch_scc0 label_0A94                                  // 000000004AFC: BF840214
	global_atomic_add_f32 v4, v39, s[16:17]                    // 000000004B00: DD348000 00102704
	v_add_u32_e64 v4, v4, s31                                  // 000000004B08: D1340004 00003F04
	s_addk_i32 s33, 0x1                                        // 000000004B10: B7210001
	s_cmp_lt_i32 s33, s51                                      // 000000004B14: BF043321
	s_cbranch_scc0 label_0A94                                  // 000000004B18: BF84020D
	global_atomic_add_f32 v4, v40, s[16:17]                    // 000000004B1C: DD348000 00102804
	v_add_u32_e64 v4, v4, s31                                  // 000000004B24: D1340004 00003F04
	s_addk_i32 s33, 0x1                                        // 000000004B2C: B7210001
	s_cmp_lt_i32 s33, s51                                      // 000000004B30: BF043321
	s_cbranch_scc0 label_0A94                                  // 000000004B34: BF840206
	global_atomic_add_f32 v4, v41, s[16:17]                    // 000000004B38: DD348000 00102904
	v_add_u32_e64 v4, v4, s31                                  // 000000004B40: D1340004 00003F04
	s_addk_i32 s33, 0x1                                        // 000000004B48: B7210001
	s_cmp_lt_i32 s33, s51                                      // 000000004B4C: BF043321
	s_cbranch_scc0 label_0A94                                  // 000000004B50: BF8401FF
	global_atomic_add_f32 v4, v42, s[16:17]                    // 000000004B54: DD348000 00102A04
	v_add_u32_e64 v4, v4, s31                                  // 000000004B5C: D1340004 00003F04
	s_addk_i32 s33, 0x1                                        // 000000004B64: B7210001
	s_cmp_lt_i32 s33, s51                                      // 000000004B68: BF043321
	s_cbranch_scc0 label_0A94                                  // 000000004B6C: BF8401F8
	global_atomic_add_f32 v4, v43, s[16:17]                    // 000000004B70: DD348000 00102B04
	v_add_u32_e64 v4, v4, s31                                  // 000000004B78: D1340004 00003F04
	s_addk_i32 s33, 0x1                                        // 000000004B80: B7210001
	s_cmp_lt_i32 s33, s51                                      // 000000004B84: BF043321
	s_cbranch_scc0 label_0A94                                  // 000000004B88: BF8401F1
	global_atomic_add_f32 v4, v44, s[16:17]                    // 000000004B8C: DD348000 00102C04
	v_add_u32_e64 v4, v4, s31                                  // 000000004B94: D1340004 00003F04
	s_addk_i32 s33, 0x1                                        // 000000004B9C: B7210001
	s_cmp_lt_i32 s33, s51                                      // 000000004BA0: BF043321
	s_cbranch_scc0 label_0A94                                  // 000000004BA4: BF8401EA
	global_atomic_add_f32 v4, v45, s[16:17]                    // 000000004BA8: DD348000 00102D04
	v_add_u32_e64 v4, v4, s31                                  // 000000004BB0: D1340004 00003F04
	s_addk_i32 s33, 0x1                                        // 000000004BB8: B7210001
	s_cmp_lt_i32 s33, s51                                      // 000000004BBC: BF043321
	s_cbranch_scc0 label_0A94                                  // 000000004BC0: BF8401E3
	global_atomic_add_f32 v4, v46, s[16:17]                    // 000000004BC4: DD348000 00102E04
	v_add_u32_e64 v4, v4, s31                                  // 000000004BCC: D1340004 00003F04
	s_addk_i32 s33, 0x1                                        // 000000004BD4: B7210001
	s_cmp_lt_i32 s33, s51                                      // 000000004BD8: BF043321
	s_cbranch_scc0 label_0A94                                  // 000000004BDC: BF8401DC
	global_atomic_add_f32 v4, v47, s[16:17]                    // 000000004BE0: DD348000 00102F04
	v_add_u32_e64 v4, v4, s31                                  // 000000004BE8: D1340004 00003F04
	s_addk_i32 s33, 0x1                                        // 000000004BF0: B7210001
	s_branch label_0A94                                        // 000000004BF4: BF8201D6

0000000000004bf8 <label_08BE>:
	v_lshrrev_b32_e32 v4, 4, v0                                // 000000004BF8: 20080084
	v_mul_u32_u24_e32 v25, 34, v4                              // 000000004BFC: 103208A2
	v_and_b32_e32 v4, 15, v0                                   // 000000004C00: 2608008F
	v_mul_lo_u32 v5, 2, v4                                     // 000000004C04: D2850005 00020882
	v_add_u32_e32 v25, v5, v25                                 // 000000004C0C: 68323305
	s_mul_i32 s31, s24, 0x88                                   // 000000004C10: 921FFF18 00000088
	v_add_u32_e32 v25, s31, v25                                // 000000004C18: 6832321F
	v_lshlrev_b32_e32 v25, 2, v25                              // 000000004C1C: 24323282
	v_and_b32_e32 v4, 31, v0                                   // 000000004C20: 2608009F
	v_lshrrev_b32_e32 v5, 1, v4                                // 000000004C24: 200A0881
	v_mul_u32_u24_e32 v28, 34, v5                              // 000000004C28: 10380AA2
	v_and_b32_e32 v5, 1, v4                                    // 000000004C2C: 260A0881
	v_add_u32_e32 v28, v5, v28                                 // 000000004C30: 68383905
	v_lshrrev_b32_e32 v4, 5, v0                                // 000000004C34: 20080085
	v_mul_u32_u24_e32 v4, 8, v4                                // 000000004C38: 10080888
	v_add_u32_e32 v28, v4, v28                                 // 000000004C3C: 68383904
	s_mul_i32 s31, s24, 2                                      // 000000004C40: 921F8218
	v_add_u32_e32 v28, s31, v28                                // 000000004C44: 6838381F
	v_lshlrev_b32_e32 v28, 2, v28                              // 000000004C48: 24383882
	s_lshr_b32 s31, s51, 2                                     // 000000004C4C: 8F1F8233
	s_and_b32 s32, s51, 3                                      // 000000004C50: 86208333
	s_cmp_lt_u32 s24, s32                                      // 000000004C54: BF0A2018
	s_cselect_b32 s32, 1, 0                                    // 000000004C58: 85208081
	s_add_u32 s51, s31, s32                                    // 000000004C5C: 8033201F
	s_mov_b32 s33, 0                                           // 000000004C60: BEA10080
	s_waitcnt vmcnt(0) expcnt(0) lgkmcnt(0)                    // 000000004C64: BF8C0000
	s_barrier                                                  // 000000004C68: BF8A0000
	v_cmp_u_f32_e64 s[56:57], v32, v32                         // 000000004C6C: D0480038 00024120
	v_add3_u32 v8, v32, v11, 1                                 // 000000004C74: D1FF0008 02061720
	v_cndmask_b32_e64 v4, v8, v10, s[56:57]                    // 000000004C7C: D1000004 00E21508
	v_cmp_u_f32_e64 s[56:57], v33, v33                         // 000000004C84: D0480038 00024321
	v_add3_u32 v8, v33, v11, 1                                 // 000000004C8C: D1FF0008 02061721
	v_cndmask_b32_e64 v5, v8, v10, s[56:57]                    // 000000004C94: D1000005 00E21508
	v_perm_b32 v48, v5, v4, s35                                // 000000004C9C: D1ED0030 008E0905
	v_cmp_u_f32_e64 s[56:57], v34, v34                         // 000000004CA4: D0480038 00024522
	v_add3_u32 v8, v34, v11, 1                                 // 000000004CAC: D1FF0008 02061722
	v_cndmask_b32_e64 v4, v8, v10, s[56:57]                    // 000000004CB4: D1000004 00E21508
	v_cmp_u_f32_e64 s[56:57], v35, v35                         // 000000004CBC: D0480038 00024723
	v_add3_u32 v8, v35, v11, 1                                 // 000000004CC4: D1FF0008 02061723
	v_cndmask_b32_e64 v5, v8, v10, s[56:57]                    // 000000004CCC: D1000005 00E21508
	v_perm_b32 v49, v5, v4, s35                                // 000000004CD4: D1ED0031 008E0905
	v_cmp_u_f32_e64 s[56:57], v36, v36                         // 000000004CDC: D0480038 00024924
	v_add3_u32 v8, v36, v11, 1                                 // 000000004CE4: D1FF0008 02061724
	v_cndmask_b32_e64 v4, v8, v10, s[56:57]                    // 000000004CEC: D1000004 00E21508
	v_cmp_u_f32_e64 s[56:57], v37, v37                         // 000000004CF4: D0480038 00024B25
	v_add3_u32 v8, v37, v11, 1                                 // 000000004CFC: D1FF0008 02061725
	v_cndmask_b32_e64 v5, v8, v10, s[56:57]                    // 000000004D04: D1000005 00E21508
	v_perm_b32 v50, v5, v4, s35                                // 000000004D0C: D1ED0032 008E0905
	v_cmp_u_f32_e64 s[56:57], v38, v38                         // 000000004D14: D0480038 00024D26
	v_add3_u32 v8, v38, v11, 1                                 // 000000004D1C: D1FF0008 02061726
	v_cndmask_b32_e64 v4, v8, v10, s[56:57]                    // 000000004D24: D1000004 00E21508
	v_cmp_u_f32_e64 s[56:57], v39, v39                         // 000000004D2C: D0480038 00024F27
	v_add3_u32 v8, v39, v11, 1                                 // 000000004D34: D1FF0008 02061727
	v_cndmask_b32_e64 v5, v8, v10, s[56:57]                    // 000000004D3C: D1000005 00E21508
	v_perm_b32 v51, v5, v4, s35                                // 000000004D44: D1ED0033 008E0905
	v_cmp_u_f32_e64 s[56:57], v40, v40                         // 000000004D4C: D0480038 00025128
	v_add3_u32 v8, v40, v11, 1                                 // 000000004D54: D1FF0008 02061728
	v_cndmask_b32_e64 v4, v8, v10, s[56:57]                    // 000000004D5C: D1000004 00E21508
	v_cmp_u_f32_e64 s[56:57], v41, v41                         // 000000004D64: D0480038 00025329
	v_add3_u32 v8, v41, v11, 1                                 // 000000004D6C: D1FF0008 02061729
	v_cndmask_b32_e64 v5, v8, v10, s[56:57]                    // 000000004D74: D1000005 00E21508
	v_perm_b32 v52, v5, v4, s35                                // 000000004D7C: D1ED0034 008E0905
	v_cmp_u_f32_e64 s[56:57], v42, v42                         // 000000004D84: D0480038 0002552A
	v_add3_u32 v8, v42, v11, 1                                 // 000000004D8C: D1FF0008 0206172A
	v_cndmask_b32_e64 v4, v8, v10, s[56:57]                    // 000000004D94: D1000004 00E21508
	v_cmp_u_f32_e64 s[56:57], v43, v43                         // 000000004D9C: D0480038 0002572B
	v_add3_u32 v8, v43, v11, 1                                 // 000000004DA4: D1FF0008 0206172B
	v_cndmask_b32_e64 v5, v8, v10, s[56:57]                    // 000000004DAC: D1000005 00E21508
	v_perm_b32 v53, v5, v4, s35                                // 000000004DB4: D1ED0035 008E0905
	v_cmp_u_f32_e64 s[56:57], v44, v44                         // 000000004DBC: D0480038 0002592C
	v_add3_u32 v8, v44, v11, 1                                 // 000000004DC4: D1FF0008 0206172C
	v_cndmask_b32_e64 v4, v8, v10, s[56:57]                    // 000000004DCC: D1000004 00E21508
	v_cmp_u_f32_e64 s[56:57], v45, v45                         // 000000004DD4: D0480038 00025B2D
	v_add3_u32 v8, v45, v11, 1                                 // 000000004DDC: D1FF0008 0206172D
	v_cndmask_b32_e64 v5, v8, v10, s[56:57]                    // 000000004DE4: D1000005 00E21508
	v_perm_b32 v54, v5, v4, s35                                // 000000004DEC: D1ED0036 008E0905
	v_cmp_u_f32_e64 s[56:57], v46, v46                         // 000000004DF4: D0480038 00025D2E
	v_add3_u32 v8, v46, v11, 1                                 // 000000004DFC: D1FF0008 0206172E
	v_cndmask_b32_e64 v4, v8, v10, s[56:57]                    // 000000004E04: D1000004 00E21508
	v_cmp_u_f32_e64 s[56:57], v47, v47                         // 000000004E0C: D0480038 00025F2F
	v_add3_u32 v8, v47, v11, 1                                 // 000000004E14: D1FF0008 0206172F
	v_cndmask_b32_e64 v5, v8, v10, s[56:57]                    // 000000004E1C: D1000005 00E21508
	v_perm_b32 v55, v5, v4, s35                                // 000000004E24: D1ED0037 008E0905
	ds_write_b64 v25, v[48:49]                                 // 000000004E2C: D89A0000 00003019
	ds_write_b64 v25, v[50:51] offset:2176                     // 000000004E34: D89A0880 00003219
	ds_write_b64 v25, v[52:53] offset:4352                     // 000000004E3C: D89A1100 00003419
	ds_write_b64 v25, v[54:55] offset:6528                     // 000000004E44: D89A1980 00003619
	s_waitcnt lgkmcnt(0)                                       // 000000004E4C: BF8CC07F
	s_barrier                                                  // 000000004E50: BF8A0000
	ds_read_b32 v48, v28                                       // 000000004E54: D86C0000 3000001C
	ds_read_b32 v49, v28 offset:64                             // 000000004E5C: D86C0040 3100001C
	ds_read_b32 v50, v28 offset:2176                           // 000000004E64: D86C0880 3200001C
	ds_read_b32 v51, v28 offset:2240                           // 000000004E6C: D86C08C0 3300001C
	ds_read_b32 v52, v28 offset:4352                           // 000000004E74: D86C1100 3400001C
	ds_read_b32 v53, v28 offset:4416                           // 000000004E7C: D86C1140 3500001C
	ds_read_b32 v54, v28 offset:6528                           // 000000004E84: D86C1980 3600001C
	ds_read_b32 v55, v28 offset:6592                           // 000000004E8C: D86C19C0 3700001C
	s_waitcnt lgkmcnt(0)                                       // 000000004E94: BF8CC07F
	s_mul_i32 s31, s30, 8                                      // 000000004E98: 921F881E
	v_mov_b32_e32 v4, v16                                      // 000000004E9C: 7E080310
	s_cmp_lt_i32 s33, s51                                      // 000000004EA0: BF043321
	s_cbranch_scc0 label_0A94                                  // 000000004EA4: BF84012A
	s_mov_b32 s54, -1                                          // 000000004EA8: BEB600C1
	s_mov_b32 s55, 0                                           // 000000004EAC: BEB70080
	s_mov_b64 exec, s[54:55]                                   // 000000004EB0: BEFE0136
	global_atomic_pk_add_bf16 v4, v48, s[16:17]                // 000000004EB4: DD488000 00103004
	s_addk_i32 s33, 0x1                                        // 000000004EBC: B7210001
	s_cmp_lt_i32 s33, s51                                      // 000000004EC0: BF043321
	s_cbranch_scc0 label_0A94                                  // 000000004EC4: BF840122
	s_mov_b32 s54, 0                                           // 000000004EC8: BEB60080
	s_mov_b32 s55, -1                                          // 000000004ECC: BEB700C1
	s_mov_b64 exec, s[54:55]                                   // 000000004ED0: BEFE0136
	global_atomic_pk_add_bf16 v4, v48, s[16:17]                // 000000004ED4: DD488000 00103004
	s_addk_i32 s33, 0x1                                        // 000000004EDC: B7210001
	s_mov_b32 s54, -1                                          // 000000004EE0: BEB600C1
	s_mov_b32 s55, -1                                          // 000000004EE4: BEB700C1
	s_mov_b64 exec, s[54:55]                                   // 000000004EE8: BEFE0136
	v_add_u32_e64 v4, v4, s31                                  // 000000004EEC: D1340004 00003F04
	s_cmp_lt_i32 s33, s51                                      // 000000004EF4: BF043321
	s_cbranch_scc0 label_0A94                                  // 000000004EF8: BF840115
	s_mov_b32 s54, -1                                          // 000000004EFC: BEB600C1
	s_mov_b32 s55, 0                                           // 000000004F00: BEB70080
	s_mov_b64 exec, s[54:55]                                   // 000000004F04: BEFE0136
	global_atomic_pk_add_bf16 v4, v49, s[16:17]                // 000000004F08: DD488000 00103104
	s_addk_i32 s33, 0x1                                        // 000000004F10: B7210001
	s_cmp_lt_i32 s33, s51                                      // 000000004F14: BF043321
	s_cbranch_scc0 label_0A94                                  // 000000004F18: BF84010D
	s_mov_b32 s54, 0                                           // 000000004F1C: BEB60080
	s_mov_b32 s55, -1                                          // 000000004F20: BEB700C1
	s_mov_b64 exec, s[54:55]                                   // 000000004F24: BEFE0136
	global_atomic_pk_add_bf16 v4, v49, s[16:17]                // 000000004F28: DD488000 00103104
	s_addk_i32 s33, 0x1                                        // 000000004F30: B7210001
	s_mov_b32 s54, -1                                          // 000000004F34: BEB600C1
	s_mov_b32 s55, -1                                          // 000000004F38: BEB700C1
	s_mov_b64 exec, s[54:55]                                   // 000000004F3C: BEFE0136
	v_add_u32_e64 v4, v4, s31                                  // 000000004F40: D1340004 00003F04
	s_cmp_lt_i32 s33, s51                                      // 000000004F48: BF043321
	s_cbranch_scc0 label_0A94                                  // 000000004F4C: BF840100
	s_mov_b32 s54, -1                                          // 000000004F50: BEB600C1
	s_mov_b32 s55, 0                                           // 000000004F54: BEB70080
	s_mov_b64 exec, s[54:55]                                   // 000000004F58: BEFE0136
	global_atomic_pk_add_bf16 v4, v50, s[16:17]                // 000000004F5C: DD488000 00103204
	s_addk_i32 s33, 0x1                                        // 000000004F64: B7210001
	s_cmp_lt_i32 s33, s51                                      // 000000004F68: BF043321
	s_cbranch_scc0 label_0A94                                  // 000000004F6C: BF8400F8
	s_mov_b32 s54, 0                                           // 000000004F70: BEB60080
	s_mov_b32 s55, -1                                          // 000000004F74: BEB700C1
	s_mov_b64 exec, s[54:55]                                   // 000000004F78: BEFE0136
	global_atomic_pk_add_bf16 v4, v50, s[16:17]                // 000000004F7C: DD488000 00103204
	s_addk_i32 s33, 0x1                                        // 000000004F84: B7210001
	s_mov_b32 s54, -1                                          // 000000004F88: BEB600C1
	s_mov_b32 s55, -1                                          // 000000004F8C: BEB700C1
	s_mov_b64 exec, s[54:55]                                   // 000000004F90: BEFE0136
	v_add_u32_e64 v4, v4, s31                                  // 000000004F94: D1340004 00003F04
	s_cmp_lt_i32 s33, s51                                      // 000000004F9C: BF043321
	s_cbranch_scc0 label_0A94                                  // 000000004FA0: BF8400EB
	s_mov_b32 s54, -1                                          // 000000004FA4: BEB600C1
	s_mov_b32 s55, 0                                           // 000000004FA8: BEB70080
	s_mov_b64 exec, s[54:55]                                   // 000000004FAC: BEFE0136
	global_atomic_pk_add_bf16 v4, v51, s[16:17]                // 000000004FB0: DD488000 00103304
	s_addk_i32 s33, 0x1                                        // 000000004FB8: B7210001
	s_cmp_lt_i32 s33, s51                                      // 000000004FBC: BF043321
	s_cbranch_scc0 label_0A94                                  // 000000004FC0: BF8400E3
	s_mov_b32 s54, 0                                           // 000000004FC4: BEB60080
	s_mov_b32 s55, -1                                          // 000000004FC8: BEB700C1
	s_mov_b64 exec, s[54:55]                                   // 000000004FCC: BEFE0136
	global_atomic_pk_add_bf16 v4, v51, s[16:17]                // 000000004FD0: DD488000 00103304
	s_addk_i32 s33, 0x1                                        // 000000004FD8: B7210001
	s_mov_b32 s54, -1                                          // 000000004FDC: BEB600C1
	s_mov_b32 s55, -1                                          // 000000004FE0: BEB700C1
	s_mov_b64 exec, s[54:55]                                   // 000000004FE4: BEFE0136
	v_add_u32_e64 v4, v4, s31                                  // 000000004FE8: D1340004 00003F04
	s_cmp_lt_i32 s33, s51                                      // 000000004FF0: BF043321
	s_cbranch_scc0 label_0A94                                  // 000000004FF4: BF8400D6
	s_mov_b32 s54, -1                                          // 000000004FF8: BEB600C1
	s_mov_b32 s55, 0                                           // 000000004FFC: BEB70080
	s_mov_b64 exec, s[54:55]                                   // 000000005000: BEFE0136
	global_atomic_pk_add_bf16 v4, v52, s[16:17]                // 000000005004: DD488000 00103404
	s_addk_i32 s33, 0x1                                        // 00000000500C: B7210001
	s_cmp_lt_i32 s33, s51                                      // 000000005010: BF043321
	s_cbranch_scc0 label_0A94                                  // 000000005014: BF8400CE
	s_mov_b32 s54, 0                                           // 000000005018: BEB60080
	s_mov_b32 s55, -1                                          // 00000000501C: BEB700C1
	s_mov_b64 exec, s[54:55]                                   // 000000005020: BEFE0136
	global_atomic_pk_add_bf16 v4, v52, s[16:17]                // 000000005024: DD488000 00103404
	s_addk_i32 s33, 0x1                                        // 00000000502C: B7210001
	s_mov_b32 s54, -1                                          // 000000005030: BEB600C1
	s_mov_b32 s55, -1                                          // 000000005034: BEB700C1
	s_mov_b64 exec, s[54:55]                                   // 000000005038: BEFE0136
	v_add_u32_e64 v4, v4, s31                                  // 00000000503C: D1340004 00003F04
	s_cmp_lt_i32 s33, s51                                      // 000000005044: BF043321
	s_cbranch_scc0 label_0A94                                  // 000000005048: BF8400C1
	s_mov_b32 s54, -1                                          // 00000000504C: BEB600C1
	s_mov_b32 s55, 0                                           // 000000005050: BEB70080
	s_mov_b64 exec, s[54:55]                                   // 000000005054: BEFE0136
	global_atomic_pk_add_bf16 v4, v53, s[16:17]                // 000000005058: DD488000 00103504
	s_addk_i32 s33, 0x1                                        // 000000005060: B7210001
	s_cmp_lt_i32 s33, s51                                      // 000000005064: BF043321
	s_cbranch_scc0 label_0A94                                  // 000000005068: BF8400B9
	s_mov_b32 s54, 0                                           // 00000000506C: BEB60080
	s_mov_b32 s55, -1                                          // 000000005070: BEB700C1
	s_mov_b64 exec, s[54:55]                                   // 000000005074: BEFE0136
	global_atomic_pk_add_bf16 v4, v53, s[16:17]                // 000000005078: DD488000 00103504
	s_addk_i32 s33, 0x1                                        // 000000005080: B7210001
	s_mov_b32 s54, -1                                          // 000000005084: BEB600C1
	s_mov_b32 s55, -1                                          // 000000005088: BEB700C1
	s_mov_b64 exec, s[54:55]                                   // 00000000508C: BEFE0136
	v_add_u32_e64 v4, v4, s31                                  // 000000005090: D1340004 00003F04
	s_cmp_lt_i32 s33, s51                                      // 000000005098: BF043321
	s_cbranch_scc0 label_0A94                                  // 00000000509C: BF8400AC
	s_mov_b32 s54, -1                                          // 0000000050A0: BEB600C1
	s_mov_b32 s55, 0                                           // 0000000050A4: BEB70080
	s_mov_b64 exec, s[54:55]                                   // 0000000050A8: BEFE0136
	global_atomic_pk_add_bf16 v4, v54, s[16:17]                // 0000000050AC: DD488000 00103604
	s_addk_i32 s33, 0x1                                        // 0000000050B4: B7210001
	s_cmp_lt_i32 s33, s51                                      // 0000000050B8: BF043321
	s_cbranch_scc0 label_0A94                                  // 0000000050BC: BF8400A4
	s_mov_b32 s54, 0                                           // 0000000050C0: BEB60080
	s_mov_b32 s55, -1                                          // 0000000050C4: BEB700C1
	s_mov_b64 exec, s[54:55]                                   // 0000000050C8: BEFE0136
	global_atomic_pk_add_bf16 v4, v54, s[16:17]                // 0000000050CC: DD488000 00103604
	s_addk_i32 s33, 0x1                                        // 0000000050D4: B7210001
	s_mov_b32 s54, -1                                          // 0000000050D8: BEB600C1
	s_mov_b32 s55, -1                                          // 0000000050DC: BEB700C1
	s_mov_b64 exec, s[54:55]                                   // 0000000050E0: BEFE0136
	v_add_u32_e64 v4, v4, s31                                  // 0000000050E4: D1340004 00003F04
	s_cmp_lt_i32 s33, s51                                      // 0000000050EC: BF043321
	s_cbranch_scc0 label_0A94                                  // 0000000050F0: BF840097
	s_mov_b32 s54, -1                                          // 0000000050F4: BEB600C1
	s_mov_b32 s55, 0                                           // 0000000050F8: BEB70080
	s_mov_b64 exec, s[54:55]                                   // 0000000050FC: BEFE0136
	global_atomic_pk_add_bf16 v4, v55, s[16:17]                // 000000005100: DD488000 00103704
	s_addk_i32 s33, 0x1                                        // 000000005108: B7210001
	s_cmp_lt_i32 s33, s51                                      // 00000000510C: BF043321
	s_cbranch_scc0 label_0A94                                  // 000000005110: BF84008F
	s_mov_b32 s54, 0                                           // 000000005114: BEB60080
	s_mov_b32 s55, -1                                          // 000000005118: BEB700C1
	s_mov_b64 exec, s[54:55]                                   // 00000000511C: BEFE0136
	global_atomic_pk_add_bf16 v4, v55, s[16:17]                // 000000005120: DD488000 00103704
	s_addk_i32 s33, 0x1                                        // 000000005128: B7210001
	s_mov_b32 s54, -1                                          // 00000000512C: BEB600C1
	s_mov_b32 s55, -1                                          // 000000005130: BEB700C1
	s_mov_b64 exec, s[54:55]                                   // 000000005134: BEFE0136
	v_add_u32_e64 v4, v4, s31                                  // 000000005138: D1340004 00003F04
	s_branch label_0A94                                        // 000000005140: BF820083

0000000000005144 <label_0A11>:
	s_cmp_lt_u32 s50, 1                                        // 000000005144: BF0A8132
	s_cbranch_scc0 label_0A1C                                  // 000000005148: BF840009
	buffer_store_dwordx4 v[32:35], v12, s[16:19], 0 offen      // 00000000514C: E07C1000 8004200C
	buffer_store_dwordx4 v[36:39], v13, s[16:19], 0 offen      // 000000005154: E07C1000 8004240D
	buffer_store_dwordx4 v[40:43], v14, s[16:19], 0 offen      // 00000000515C: E07C1000 8004280E
	buffer_store_dwordx4 v[44:47], v15, s[16:19], 0 offen      // 000000005164: E07C1000 80042C0F
	s_branch label_0A94                                        // 00000000516C: BF820078

0000000000005170 <label_0A1C>:
	v_cmp_u_f32_e64 s[56:57], v32, v32                         // 000000005170: D0480038 00024120
	v_add3_u32 v8, v32, v11, 1                                 // 000000005178: D1FF0008 02061720
	v_cndmask_b32_e64 v4, v8, v10, s[56:57]                    // 000000005180: D1000004 00E21508
	v_cmp_u_f32_e64 s[56:57], v33, v33                         // 000000005188: D0480038 00024321
	v_add3_u32 v8, v33, v11, 1                                 // 000000005190: D1FF0008 02061721
	v_cndmask_b32_e64 v5, v8, v10, s[56:57]                    // 000000005198: D1000005 00E21508
	v_perm_b32 v48, v5, v4, s35                                // 0000000051A0: D1ED0030 008E0905
	v_cmp_u_f32_e64 s[56:57], v34, v34                         // 0000000051A8: D0480038 00024522
	v_add3_u32 v8, v34, v11, 1                                 // 0000000051B0: D1FF0008 02061722
	v_cndmask_b32_e64 v4, v8, v10, s[56:57]                    // 0000000051B8: D1000004 00E21508
	v_cmp_u_f32_e64 s[56:57], v35, v35                         // 0000000051C0: D0480038 00024723
	v_add3_u32 v8, v35, v11, 1                                 // 0000000051C8: D1FF0008 02061723
	v_cndmask_b32_e64 v5, v8, v10, s[56:57]                    // 0000000051D0: D1000005 00E21508
	v_perm_b32 v49, v5, v4, s35                                // 0000000051D8: D1ED0031 008E0905
	buffer_store_dwordx2 v[48:49], v12, s[16:19], 0 offen      // 0000000051E0: E0741000 8004300C
	v_cmp_u_f32_e64 s[56:57], v36, v36                         // 0000000051E8: D0480038 00024924
	v_add3_u32 v8, v36, v11, 1                                 // 0000000051F0: D1FF0008 02061724
	v_cndmask_b32_e64 v4, v8, v10, s[56:57]                    // 0000000051F8: D1000004 00E21508
	v_cmp_u_f32_e64 s[56:57], v37, v37                         // 000000005200: D0480038 00024B25
	v_add3_u32 v8, v37, v11, 1                                 // 000000005208: D1FF0008 02061725
	v_cndmask_b32_e64 v5, v8, v10, s[56:57]                    // 000000005210: D1000005 00E21508
	v_perm_b32 v50, v5, v4, s35                                // 000000005218: D1ED0032 008E0905
	v_cmp_u_f32_e64 s[56:57], v38, v38                         // 000000005220: D0480038 00024D26
	v_add3_u32 v8, v38, v11, 1                                 // 000000005228: D1FF0008 02061726
	v_cndmask_b32_e64 v4, v8, v10, s[56:57]                    // 000000005230: D1000004 00E21508
	v_cmp_u_f32_e64 s[56:57], v39, v39                         // 000000005238: D0480038 00024F27
	v_add3_u32 v8, v39, v11, 1                                 // 000000005240: D1FF0008 02061727
	v_cndmask_b32_e64 v5, v8, v10, s[56:57]                    // 000000005248: D1000005 00E21508
	v_perm_b32 v51, v5, v4, s35                                // 000000005250: D1ED0033 008E0905
	buffer_store_dwordx2 v[50:51], v13, s[16:19], 0 offen      // 000000005258: E0741000 8004320D
	v_cmp_u_f32_e64 s[56:57], v40, v40                         // 000000005260: D0480038 00025128
	v_add3_u32 v8, v40, v11, 1                                 // 000000005268: D1FF0008 02061728
	v_cndmask_b32_e64 v4, v8, v10, s[56:57]                    // 000000005270: D1000004 00E21508
	v_cmp_u_f32_e64 s[56:57], v41, v41                         // 000000005278: D0480038 00025329
	v_add3_u32 v8, v41, v11, 1                                 // 000000005280: D1FF0008 02061729
	v_cndmask_b32_e64 v5, v8, v10, s[56:57]                    // 000000005288: D1000005 00E21508
	v_perm_b32 v52, v5, v4, s35                                // 000000005290: D1ED0034 008E0905
	v_cmp_u_f32_e64 s[56:57], v42, v42                         // 000000005298: D0480038 0002552A
	v_add3_u32 v8, v42, v11, 1                                 // 0000000052A0: D1FF0008 0206172A
	v_cndmask_b32_e64 v4, v8, v10, s[56:57]                    // 0000000052A8: D1000004 00E21508
	v_cmp_u_f32_e64 s[56:57], v43, v43                         // 0000000052B0: D0480038 0002572B
	v_add3_u32 v8, v43, v11, 1                                 // 0000000052B8: D1FF0008 0206172B
	v_cndmask_b32_e64 v5, v8, v10, s[56:57]                    // 0000000052C0: D1000005 00E21508
	v_perm_b32 v53, v5, v4, s35                                // 0000000052C8: D1ED0035 008E0905
	buffer_store_dwordx2 v[52:53], v14, s[16:19], 0 offen      // 0000000052D0: E0741000 8004340E
	v_cmp_u_f32_e64 s[56:57], v44, v44                         // 0000000052D8: D0480038 0002592C
	v_add3_u32 v8, v44, v11, 1                                 // 0000000052E0: D1FF0008 0206172C
	v_cndmask_b32_e64 v4, v8, v10, s[56:57]                    // 0000000052E8: D1000004 00E21508
	v_cmp_u_f32_e64 s[56:57], v45, v45                         // 0000000052F0: D0480038 00025B2D
	v_add3_u32 v8, v45, v11, 1                                 // 0000000052F8: D1FF0008 0206172D
	v_cndmask_b32_e64 v5, v8, v10, s[56:57]                    // 000000005300: D1000005 00E21508
	v_perm_b32 v54, v5, v4, s35                                // 000000005308: D1ED0036 008E0905
	v_cmp_u_f32_e64 s[56:57], v46, v46                         // 000000005310: D0480038 00025D2E
	v_add3_u32 v8, v46, v11, 1                                 // 000000005318: D1FF0008 0206172E
	v_cndmask_b32_e64 v4, v8, v10, s[56:57]                    // 000000005320: D1000004 00E21508
	v_cmp_u_f32_e64 s[56:57], v47, v47                         // 000000005328: D0480038 00025F2F
	v_add3_u32 v8, v47, v11, 1                                 // 000000005330: D1FF0008 0206172F
	v_cndmask_b32_e64 v5, v8, v10, s[56:57]                    // 000000005338: D1000005 00E21508
	v_perm_b32 v55, v5, v4, s35                                // 000000005340: D1ED0037 008E0905
	buffer_store_dwordx2 v[54:55], v15, s[16:19], 0 offen      // 000000005348: E0741000 8004360F

0000000000005350 <label_0A94>:
	s_waitcnt vmcnt(0) expcnt(0) lgkmcnt(0)                    // 000000005350: BF8C0000
	s_endpgm                                                   // 000000005354: BF810000
